;; amdgpu-corpus repo=pytorch/pytorch kind=compiled arch=gfx1030 opt=O3
	.amdgcn_target "amdgcn-amd-amdhsa--gfx1030"
	.amdhsa_code_object_version 6
	.text
	.p2align	2                               ; -- Begin function _ZZZZN2at6native12_GLOBAL__N_121bessel_j1_kernel_cudaERNS_18TensorIteratorBaseEENKUlvE_clEvENKUlvE_clEvENKUldE_clEd
	.type	_ZZZZN2at6native12_GLOBAL__N_121bessel_j1_kernel_cudaERNS_18TensorIteratorBaseEENKUlvE_clEvENKUlvE_clEvENKUldE_clEd,@function
_ZZZZN2at6native12_GLOBAL__N_121bessel_j1_kernel_cudaERNS_18TensorIteratorBaseEENKUlvE_clEvENKUlvE_clEvENKUldE_clEd: ; @_ZZZZN2at6native12_GLOBAL__N_121bessel_j1_kernel_cudaERNS_18TensorIteratorBaseEENKUlvE_clEvENKUlvE_clEvENKUldE_clEd
; %bb.0:
                                        ; implicit-def: $vgpr2_vgpr3
	s_waitcnt vmcnt(0) expcnt(0) lgkmcnt(0)
	s_mov_b32 s4, exec_lo
	v_cmpx_ngt_f64_e32 0, v[0:1]
	s_xor_b32 s16, exec_lo, s4
	s_cbranch_execz .LBB0_6
; %bb.1:
	s_mov_b32 s4, exec_lo
                                        ; implicit-def: $vgpr2_vgpr3
	v_cmpx_ge_f64_e32 0x40140000, v[0:1]
	s_xor_b32 s4, exec_lo, s4
	s_cbranch_execz .LBB0_3
; %bb.2:
	v_mul_f64 v[2:3], v[0:1], v[0:1]
	s_mov_b32 s6, 0x1b7086e7
	s_mov_b32 s7, 0x408366b1
	;; [unrolled: 1-line block ×4, first 2 shown]
	v_fma_f64 v[4:5], v[2:3], 0, s[6:7]
	s_mov_b32 s6, 0xdd701b2
	s_mov_b32 s7, 0x410f5eda
	v_fma_f64 v[4:5], v[2:3], v[4:5], s[6:7]
	s_mov_b32 s6, 0xdc92a1b1
	s_mov_b32 s7, 0x4193e954
	;; [unrolled: 3-line block ×10, first 2 shown]
	v_fma_f64 v[6:7], v[2:3], v[6:7], s[8:9]
	v_fma_f64 v[2:3], v[2:3], v[4:5], s[6:7]
	s_mov_b32 s6, 0x4189822c
	s_mov_b32 s7, 0xc02d5d2b
	v_div_scale_f64 v[4:5], null, v[2:3], v[2:3], v[6:7]
	v_div_scale_f64 v[12:13], vcc_lo, v[6:7], v[2:3], v[6:7]
	v_rcp_f64_e32 v[8:9], v[4:5]
	v_fma_f64 v[10:11], -v[4:5], v[8:9], 1.0
	v_fma_f64 v[8:9], v[8:9], v[10:11], v[8:9]
	v_fma_f64 v[10:11], -v[4:5], v[8:9], 1.0
	v_fma_f64 v[8:9], v[8:9], v[10:11], v[8:9]
	v_mul_f64 v[10:11], v[12:13], v[8:9]
	v_fma_f64 v[4:5], -v[4:5], v[10:11], v[12:13]
	v_div_fmas_f64 v[4:5], v[4:5], v[8:9], v[10:11]
	v_div_fixup_f64 v[2:3], v[4:5], v[2:3], v[6:7]
	v_fma_f64 v[4:5], v[0:1], v[0:1], s[6:7]
	s_mov_b32 s6, 0x6072a432
	s_mov_b32 s7, 0xc0489bf6
	v_mul_f64 v[2:3], v[0:1], v[2:3]
	v_fma_f64 v[0:1], v[0:1], v[0:1], s[6:7]
	v_mul_f64 v[2:3], v[4:5], v[2:3]
	v_mul_f64 v[2:3], v[0:1], v[2:3]
                                        ; implicit-def: $vgpr0_vgpr1
.LBB0_3:
	s_andn2_saveexec_b32 s17, s4
	s_cbranch_execz .LBB0_23
; %bb.4:
	s_mov_b32 s4, 0x7f3321d2
	s_mov_b32 s5, 0xc002d97c
                                        ; implicit-def: $vgpr20
                                        ; implicit-def: $vgpr4_vgpr5
                                        ; implicit-def: $vgpr6_vgpr7
	v_add_f64 v[2:3], v[0:1], s[4:5]
	v_cmp_ngt_f64_e64 s4, 0x41d00000, |v[2:3]|
	v_trig_preop_f64 v[16:17], |v[2:3]|, 0
	v_trig_preop_f64 v[14:15], |v[2:3]|, 1
	v_ldexp_f64 v[18:19], |v[2:3]|, 0xffffff80
	v_trig_preop_f64 v[12:13], |v[2:3]|, 2
	v_and_b32_e32 v22, 0x7fffffff, v3
	s_and_saveexec_b32 s5, s4
	s_xor_b32 s5, exec_lo, s5
	s_cbranch_execz .LBB0_12
; %bb.5:
	v_cmp_le_f64_e64 vcc_lo, 0x7b000000, |v[2:3]|
	v_mov_b32_e32 v33, 0
	s_mov_b32 s6, 0x54442d18
	s_mov_b32 s7, 0x3ff921fb
	;; [unrolled: 1-line block ×4, first 2 shown]
	v_cndmask_b32_e32 v5, v22, v19, vcc_lo
	v_cndmask_b32_e32 v4, v2, v18, vcc_lo
	v_mul_f64 v[6:7], v[16:17], v[4:5]
	v_mul_f64 v[8:9], v[14:15], v[4:5]
	;; [unrolled: 1-line block ×3, first 2 shown]
	v_fma_f64 v[10:11], v[16:17], v[4:5], -v[6:7]
	v_fma_f64 v[31:32], v[14:15], v[4:5], -v[8:9]
	;; [unrolled: 1-line block ×3, first 2 shown]
	v_add_f64 v[20:21], v[8:9], v[10:11]
	v_add_f64 v[23:24], v[20:21], -v[8:9]
	v_add_f64 v[27:28], v[6:7], v[20:21]
	v_add_f64 v[25:26], v[20:21], -v[23:24]
	v_add_f64 v[10:11], v[10:11], -v[23:24]
	v_ldexp_f64 v[23:24], v[27:28], -2
	v_add_f64 v[6:7], v[27:28], -v[6:7]
	v_add_f64 v[8:9], v[8:9], -v[25:26]
	v_add_f64 v[25:26], v[29:30], v[31:32]
	v_cmp_neq_f64_e64 vcc_lo, 0x7ff00000, |v[23:24]|
	v_add_f64 v[6:7], v[20:21], -v[6:7]
	v_add_f64 v[8:9], v[10:11], v[8:9]
	v_fract_f64_e32 v[10:11], v[23:24]
	v_add_f64 v[20:21], v[25:26], v[8:9]
	v_ldexp_f64 v[10:11], v[10:11], 2
	v_add_f64 v[23:24], v[6:7], v[20:21]
	v_cndmask_b32_e32 v11, 0, v11, vcc_lo
	v_cndmask_b32_e32 v10, 0, v10, vcc_lo
	v_add_f64 v[27:28], v[23:24], v[10:11]
	v_add_f64 v[6:7], v[23:24], -v[6:7]
	v_cmp_gt_f64_e32 vcc_lo, 0, v[27:28]
	v_add_f64 v[27:28], v[25:26], -v[29:30]
	v_add_f64 v[6:7], v[20:21], -v[6:7]
	v_cndmask_b32_e64 v34, 0, 0x40100000, vcc_lo
	v_add_f64 v[38:39], v[25:26], -v[27:28]
	v_add_f64 v[27:28], v[31:32], -v[27:28]
	v_add_f64 v[10:11], v[10:11], v[33:34]
	v_add_f64 v[34:35], v[20:21], -v[25:26]
	v_add_f64 v[31:32], v[29:30], -v[38:39]
	v_add_f64 v[36:37], v[23:24], v[10:11]
	v_add_f64 v[48:49], v[20:21], -v[34:35]
	v_add_f64 v[8:9], v[8:9], -v[34:35]
	v_add_f64 v[27:28], v[27:28], v[31:32]
	v_cvt_i32_f64_e32 v36, v[36:37]
	v_add_f64 v[25:26], v[25:26], -v[48:49]
	v_cvt_f64_i32_e32 v[34:35], v36
	v_add_f64 v[8:9], v[8:9], v[25:26]
	v_add_f64 v[10:11], v[10:11], -v[34:35]
	v_add_f64 v[8:9], v[27:28], v[8:9]
	v_add_f64 v[25:26], v[23:24], v[10:11]
	;; [unrolled: 1-line block ×3, first 2 shown]
	v_add_f64 v[8:9], v[25:26], -v[10:11]
	v_cmp_le_f64_e32 vcc_lo, 0.5, v[25:26]
	v_add_f64 v[4:5], v[6:7], v[4:5]
	v_add_f64 v[6:7], v[23:24], -v[8:9]
	v_cndmask_b32_e64 v34, 0, 0x3ff00000, vcc_lo
	v_add_co_ci_u32_e64 v20, null, 0, v36, vcc_lo
	v_add_f64 v[4:5], v[4:5], v[6:7]
	v_add_f64 v[6:7], v[25:26], -v[33:34]
	v_add_f64 v[8:9], v[6:7], v[4:5]
	v_mul_f64 v[10:11], v[8:9], s[6:7]
	v_add_f64 v[6:7], v[8:9], -v[6:7]
	v_fma_f64 v[23:24], v[8:9], s[6:7], -v[10:11]
	v_add_f64 v[4:5], v[4:5], -v[6:7]
	v_fma_f64 v[6:7], v[8:9], s[8:9], v[23:24]
	v_fma_f64 v[6:7], v[4:5], s[6:7], v[6:7]
	v_add_f64 v[4:5], v[10:11], v[6:7]
	v_add_f64 v[8:9], v[4:5], -v[10:11]
	v_add_f64 v[6:7], v[6:7], -v[8:9]
	s_andn2_saveexec_b32 s5, s5
	s_cbranch_execz .LBB0_14
	s_branch .LBB0_13
.LBB0_6:
	s_andn2_saveexec_b32 s18, s16
	s_cbranch_execz .LBB0_24
.LBB0_7:
	s_mov_b32 s4, exec_lo
                                        ; implicit-def: $vgpr2_vgpr3
	v_cmpx_le_f64_e32 0xc0140000, v[0:1]
	s_xor_b32 s4, exec_lo, s4
	s_cbranch_execz .LBB0_9
; %bb.8:
	v_mul_f64 v[2:3], v[0:1], v[0:1]
	s_mov_b32 s6, 0x1b7086e7
	s_mov_b32 s7, 0x408366b1
	;; [unrolled: 1-line block ×4, first 2 shown]
	v_fma_f64 v[4:5], v[2:3], 0, s[6:7]
	s_mov_b32 s6, 0xdd701b2
	s_mov_b32 s7, 0x410f5eda
	v_fma_f64 v[4:5], v[2:3], v[4:5], s[6:7]
	s_mov_b32 s6, 0xdc92a1b1
	s_mov_b32 s7, 0x4193e954
	v_fma_f64 v[4:5], v[2:3], v[4:5], s[6:7]
	s_mov_b32 s6, 0x7befeac1
	s_mov_b32 s7, 0x4214a13f
	v_fma_f64 v[4:5], v[2:3], v[4:5], s[6:7]
	s_mov_b32 s6, 0x4cda4fc5
	s_mov_b32 s7, 0xc1cad23c
	v_fma_f64 v[6:7], v[2:3], 0, s[6:7]
	s_mov_b32 s6, 0xd438c6b
	s_mov_b32 s7, 0x425a52ba
	v_fma_f64 v[4:5], v[2:3], v[4:5], s[8:9]
	s_mov_b32 s8, 0x3eccf45f
	s_mov_b32 s9, 0x43064b0a
	v_fma_f64 v[6:7], v[2:3], v[6:7], s[6:7]
	s_mov_b32 s6, 0xe6ccf175
	s_mov_b32 s7, 0xc2d08a92
	v_fma_f64 v[4:5], v[2:3], v[4:5], s[8:9]
	s_mov_b32 s8, 0xf4653f81
	s_mov_b32 s9, 0x4373e0bf
	v_fma_f64 v[6:7], v[2:3], v[6:7], s[6:7]
	s_mov_b32 s6, 0x76702939
	s_mov_b32 s7, 0x43d27795
	v_fma_f64 v[4:5], v[2:3], v[4:5], s[8:9]
	s_mov_b32 s8, 0xa697c482
	s_mov_b32 s9, 0x432a2b42
	v_fma_f64 v[6:7], v[2:3], v[6:7], s[8:9]
	v_fma_f64 v[2:3], v[2:3], v[4:5], s[6:7]
	s_mov_b32 s6, 0x4189822c
	s_mov_b32 s7, 0xc02d5d2b
	v_div_scale_f64 v[4:5], null, v[2:3], v[2:3], v[6:7]
	v_div_scale_f64 v[12:13], vcc_lo, v[6:7], v[2:3], v[6:7]
	v_rcp_f64_e32 v[8:9], v[4:5]
	v_fma_f64 v[10:11], -v[4:5], v[8:9], 1.0
	v_fma_f64 v[8:9], v[8:9], v[10:11], v[8:9]
	v_fma_f64 v[10:11], -v[4:5], v[8:9], 1.0
	v_fma_f64 v[8:9], v[8:9], v[10:11], v[8:9]
	v_mul_f64 v[10:11], v[12:13], v[8:9]
	v_fma_f64 v[4:5], -v[4:5], v[10:11], v[12:13]
	v_div_fmas_f64 v[4:5], v[4:5], v[8:9], v[10:11]
	v_div_fixup_f64 v[2:3], v[4:5], v[2:3], v[6:7]
	v_fma_f64 v[4:5], v[0:1], v[0:1], s[6:7]
	s_mov_b32 s6, 0x6072a432
	s_mov_b32 s7, 0xc0489bf6
	v_mul_f64 v[2:3], v[2:3], -v[0:1]
	v_fma_f64 v[0:1], v[0:1], v[0:1], s[6:7]
	v_mul_f64 v[2:3], v[4:5], v[2:3]
	v_mul_f64 v[2:3], v[0:1], v[2:3]
                                        ; implicit-def: $vgpr0_vgpr1
.LBB0_9:
	s_andn2_saveexec_b32 s19, s4
	s_cbranch_execz .LBB0_28
; %bb.10:
	s_mov_b32 s4, 0x7f3321d2
	s_mov_b32 s5, 0xc002d97c
                                        ; implicit-def: $vgpr20
                                        ; implicit-def: $vgpr4_vgpr5
                                        ; implicit-def: $vgpr6_vgpr7
	v_add_f64 v[2:3], -v[0:1], s[4:5]
	v_cmp_ngt_f64_e64 s4, 0x41d00000, |v[2:3]|
	v_trig_preop_f64 v[16:17], |v[2:3]|, 0
	v_trig_preop_f64 v[14:15], |v[2:3]|, 1
	v_ldexp_f64 v[18:19], |v[2:3]|, 0xffffff80
	v_trig_preop_f64 v[12:13], |v[2:3]|, 2
	v_and_b32_e32 v22, 0x7fffffff, v3
	s_and_saveexec_b32 s5, s4
	s_xor_b32 s5, exec_lo, s5
	s_cbranch_execz .LBB0_16
; %bb.11:
	v_cmp_le_f64_e64 vcc_lo, 0x7b000000, |v[2:3]|
	v_mov_b32_e32 v33, 0
	s_mov_b32 s6, 0x54442d18
	s_mov_b32 s7, 0x3ff921fb
	;; [unrolled: 1-line block ×4, first 2 shown]
	v_cndmask_b32_e32 v5, v22, v19, vcc_lo
	v_cndmask_b32_e32 v4, v2, v18, vcc_lo
	v_mul_f64 v[6:7], v[16:17], v[4:5]
	v_mul_f64 v[8:9], v[14:15], v[4:5]
	;; [unrolled: 1-line block ×3, first 2 shown]
	v_fma_f64 v[10:11], v[16:17], v[4:5], -v[6:7]
	v_fma_f64 v[31:32], v[14:15], v[4:5], -v[8:9]
	;; [unrolled: 1-line block ×3, first 2 shown]
	v_add_f64 v[20:21], v[8:9], v[10:11]
	v_add_f64 v[23:24], v[20:21], -v[8:9]
	v_add_f64 v[27:28], v[6:7], v[20:21]
	v_add_f64 v[25:26], v[20:21], -v[23:24]
	v_add_f64 v[10:11], v[10:11], -v[23:24]
	v_ldexp_f64 v[23:24], v[27:28], -2
	v_add_f64 v[6:7], v[27:28], -v[6:7]
	v_add_f64 v[8:9], v[8:9], -v[25:26]
	v_add_f64 v[25:26], v[29:30], v[31:32]
	v_cmp_neq_f64_e64 vcc_lo, 0x7ff00000, |v[23:24]|
	v_add_f64 v[6:7], v[20:21], -v[6:7]
	v_add_f64 v[8:9], v[10:11], v[8:9]
	v_fract_f64_e32 v[10:11], v[23:24]
	v_add_f64 v[20:21], v[25:26], v[8:9]
	v_ldexp_f64 v[10:11], v[10:11], 2
	v_add_f64 v[23:24], v[6:7], v[20:21]
	v_cndmask_b32_e32 v11, 0, v11, vcc_lo
	v_cndmask_b32_e32 v10, 0, v10, vcc_lo
	v_add_f64 v[27:28], v[23:24], v[10:11]
	v_add_f64 v[6:7], v[23:24], -v[6:7]
	v_cmp_gt_f64_e32 vcc_lo, 0, v[27:28]
	v_add_f64 v[27:28], v[25:26], -v[29:30]
	v_add_f64 v[6:7], v[20:21], -v[6:7]
	v_cndmask_b32_e64 v34, 0, 0x40100000, vcc_lo
	v_add_f64 v[38:39], v[25:26], -v[27:28]
	v_add_f64 v[27:28], v[31:32], -v[27:28]
	v_add_f64 v[10:11], v[10:11], v[33:34]
	v_add_f64 v[34:35], v[20:21], -v[25:26]
	v_add_f64 v[31:32], v[29:30], -v[38:39]
	v_add_f64 v[36:37], v[23:24], v[10:11]
	;; [unrolled: 3-line block ×3, first 2 shown]
	v_cvt_i32_f64_e32 v36, v[36:37]
	v_add_f64 v[25:26], v[25:26], -v[48:49]
	v_cvt_f64_i32_e32 v[34:35], v36
	v_add_f64 v[8:9], v[8:9], v[25:26]
	v_add_f64 v[10:11], v[10:11], -v[34:35]
	v_add_f64 v[8:9], v[27:28], v[8:9]
	v_add_f64 v[25:26], v[23:24], v[10:11]
	;; [unrolled: 1-line block ×3, first 2 shown]
	v_add_f64 v[8:9], v[25:26], -v[10:11]
	v_cmp_le_f64_e32 vcc_lo, 0.5, v[25:26]
	v_add_f64 v[4:5], v[6:7], v[4:5]
	v_add_f64 v[6:7], v[23:24], -v[8:9]
	v_cndmask_b32_e64 v34, 0, 0x3ff00000, vcc_lo
	v_add_co_ci_u32_e64 v20, null, 0, v36, vcc_lo
	v_add_f64 v[4:5], v[4:5], v[6:7]
	v_add_f64 v[6:7], v[25:26], -v[33:34]
	v_add_f64 v[8:9], v[6:7], v[4:5]
	v_mul_f64 v[10:11], v[8:9], s[6:7]
	v_add_f64 v[6:7], v[8:9], -v[6:7]
	v_fma_f64 v[23:24], v[8:9], s[6:7], -v[10:11]
	v_add_f64 v[4:5], v[4:5], -v[6:7]
	v_fma_f64 v[6:7], v[8:9], s[8:9], v[23:24]
	v_fma_f64 v[6:7], v[4:5], s[6:7], v[6:7]
	v_add_f64 v[4:5], v[10:11], v[6:7]
	v_add_f64 v[8:9], v[4:5], -v[10:11]
	v_add_f64 v[6:7], v[6:7], -v[8:9]
	s_andn2_saveexec_b32 s5, s5
	s_cbranch_execz .LBB0_18
	s_branch .LBB0_17
.LBB0_12:
	s_andn2_saveexec_b32 s5, s5
	s_cbranch_execz .LBB0_14
.LBB0_13:
	s_mov_b32 s6, 0x6dc9c883
	s_mov_b32 s7, 0x3fe45f30
	;; [unrolled: 1-line block ×3, first 2 shown]
	v_mul_f64 v[4:5], |v[2:3]|, s[6:7]
	s_mov_b32 s6, 0x54442d18
	s_mov_b32 s7, 0xbff921fb
	;; [unrolled: 1-line block ×3, first 2 shown]
	v_rndne_f64_e32 v[8:9], v[4:5]
	v_fma_f64 v[4:5], v[8:9], s[6:7], |v[2:3]|
	v_mul_f64 v[6:7], v[8:9], s[8:9]
	s_mov_b32 s6, 0x252049c0
	s_mov_b32 s7, 0xb97b839a
	v_fma_f64 v[20:21], v[8:9], s[8:9], v[4:5]
	v_add_f64 v[10:11], v[4:5], v[6:7]
	s_mov_b32 s9, 0x3c91a626
	v_add_f64 v[4:5], v[4:5], -v[10:11]
	v_add_f64 v[10:11], v[10:11], -v[20:21]
	v_add_f64 v[4:5], v[4:5], v[6:7]
	v_fma_f64 v[6:7], v[8:9], s[8:9], v[6:7]
	v_add_f64 v[4:5], v[10:11], v[4:5]
	v_add_f64 v[4:5], v[4:5], -v[6:7]
	v_fma_f64 v[6:7], v[8:9], s[6:7], v[4:5]
	v_add_f64 v[4:5], v[20:21], v[6:7]
	v_add_f64 v[10:11], v[4:5], -v[20:21]
	v_cvt_i32_f64_e32 v20, v[8:9]
	v_add_f64 v[6:7], v[6:7], -v[10:11]
.LBB0_14:
	s_or_b32 exec_lo, exec_lo, s5
                                        ; implicit-def: $vgpr21
                                        ; implicit-def: $vgpr8_vgpr9
                                        ; implicit-def: $vgpr10_vgpr11
	s_and_saveexec_b32 s5, s4
	s_xor_b32 s4, exec_lo, s5
	s_cbranch_execz .LBB0_20
; %bb.15:
	v_cmp_le_f64_e64 vcc_lo, 0x7b000000, |v[2:3]|
	v_mov_b32_e32 v31, 0
	s_mov_b32 s6, 0x54442d18
	s_mov_b32 s7, 0x3ff921fb
	s_mov_b32 s8, 0x33145c07
	s_mov_b32 s9, 0x3c91a626
	v_cndmask_b32_e32 v9, v22, v19, vcc_lo
	v_cndmask_b32_e32 v8, v2, v18, vcc_lo
	v_mul_f64 v[10:11], v[16:17], v[8:9]
	v_mul_f64 v[18:19], v[14:15], v[8:9]
	;; [unrolled: 1-line block ×3, first 2 shown]
	v_fma_f64 v[16:17], v[16:17], v[8:9], -v[10:11]
	v_fma_f64 v[14:15], v[14:15], v[8:9], -v[18:19]
	;; [unrolled: 1-line block ×3, first 2 shown]
	v_add_f64 v[21:22], v[18:19], v[16:17]
	v_add_f64 v[23:24], v[21:22], -v[18:19]
	v_add_f64 v[27:28], v[10:11], v[21:22]
	v_add_f64 v[25:26], v[21:22], -v[23:24]
	v_add_f64 v[16:17], v[16:17], -v[23:24]
	v_ldexp_f64 v[23:24], v[27:28], -2
	v_add_f64 v[10:11], v[27:28], -v[10:11]
	v_add_f64 v[18:19], v[18:19], -v[25:26]
	v_add_f64 v[25:26], v[29:30], v[14:15]
	v_cmp_neq_f64_e64 vcc_lo, 0x7ff00000, |v[23:24]|
	v_add_f64 v[10:11], v[21:22], -v[10:11]
	v_add_f64 v[16:17], v[16:17], v[18:19]
	v_fract_f64_e32 v[18:19], v[23:24]
	v_add_f64 v[21:22], v[25:26], v[16:17]
	v_ldexp_f64 v[18:19], v[18:19], 2
	v_add_f64 v[23:24], v[10:11], v[21:22]
	v_cndmask_b32_e32 v19, 0, v19, vcc_lo
	v_cndmask_b32_e32 v18, 0, v18, vcc_lo
	v_add_f64 v[27:28], v[23:24], v[18:19]
	v_add_f64 v[10:11], v[23:24], -v[10:11]
	v_cmp_gt_f64_e32 vcc_lo, 0, v[27:28]
	v_add_f64 v[27:28], v[25:26], -v[29:30]
	v_add_f64 v[10:11], v[21:22], -v[10:11]
	v_cndmask_b32_e64 v32, 0, 0x40100000, vcc_lo
	v_add_f64 v[36:37], v[25:26], -v[27:28]
	v_add_f64 v[14:15], v[14:15], -v[27:28]
	v_add_f64 v[18:19], v[18:19], v[31:32]
	v_add_f64 v[32:33], v[21:22], -v[25:26]
	v_add_f64 v[27:28], v[29:30], -v[36:37]
	v_add_f64 v[34:35], v[23:24], v[18:19]
	v_add_f64 v[38:39], v[21:22], -v[32:33]
	v_add_f64 v[16:17], v[16:17], -v[32:33]
	v_add_f64 v[14:15], v[14:15], v[27:28]
	v_cvt_i32_f64_e32 v34, v[34:35]
	v_add_f64 v[25:26], v[25:26], -v[38:39]
	v_cvt_f64_i32_e32 v[32:33], v34
	v_add_f64 v[16:17], v[16:17], v[25:26]
	v_add_f64 v[18:19], v[18:19], -v[32:33]
	v_add_f64 v[12:13], v[14:15], v[16:17]
	v_add_f64 v[14:15], v[23:24], v[18:19]
	;; [unrolled: 1-line block ×3, first 2 shown]
	v_add_f64 v[12:13], v[14:15], -v[18:19]
	v_cmp_le_f64_e32 vcc_lo, 0.5, v[14:15]
	v_add_f64 v[8:9], v[10:11], v[8:9]
	v_add_f64 v[10:11], v[23:24], -v[12:13]
	v_cndmask_b32_e64 v32, 0, 0x3ff00000, vcc_lo
	v_add_co_ci_u32_e64 v21, null, 0, v34, vcc_lo
	v_add_f64 v[8:9], v[8:9], v[10:11]
	v_add_f64 v[10:11], v[14:15], -v[31:32]
	v_add_f64 v[12:13], v[10:11], v[8:9]
	v_mul_f64 v[14:15], v[12:13], s[6:7]
	v_add_f64 v[10:11], v[12:13], -v[10:11]
	v_fma_f64 v[16:17], v[12:13], s[6:7], -v[14:15]
	v_add_f64 v[8:9], v[8:9], -v[10:11]
	v_fma_f64 v[10:11], v[12:13], s[8:9], v[16:17]
	v_fma_f64 v[10:11], v[8:9], s[6:7], v[10:11]
	v_add_f64 v[8:9], v[14:15], v[10:11]
	v_add_f64 v[12:13], v[8:9], -v[14:15]
	v_add_f64 v[10:11], v[10:11], -v[12:13]
	s_andn2_saveexec_b32 s4, s4
	s_cbranch_execnz .LBB0_21
	s_branch .LBB0_22
.LBB0_16:
	s_andn2_saveexec_b32 s5, s5
	s_cbranch_execz .LBB0_18
.LBB0_17:
	s_mov_b32 s6, 0x6dc9c883
	s_mov_b32 s7, 0x3fe45f30
	;; [unrolled: 1-line block ×3, first 2 shown]
	v_mul_f64 v[4:5], |v[2:3]|, s[6:7]
	s_mov_b32 s6, 0x54442d18
	s_mov_b32 s7, 0xbff921fb
	;; [unrolled: 1-line block ×3, first 2 shown]
	v_rndne_f64_e32 v[8:9], v[4:5]
	v_fma_f64 v[4:5], v[8:9], s[6:7], |v[2:3]|
	v_mul_f64 v[6:7], v[8:9], s[8:9]
	s_mov_b32 s6, 0x252049c0
	s_mov_b32 s7, 0xb97b839a
	v_fma_f64 v[20:21], v[8:9], s[8:9], v[4:5]
	v_add_f64 v[10:11], v[4:5], v[6:7]
	s_mov_b32 s9, 0x3c91a626
	v_add_f64 v[4:5], v[4:5], -v[10:11]
	v_add_f64 v[10:11], v[10:11], -v[20:21]
	v_add_f64 v[4:5], v[4:5], v[6:7]
	v_fma_f64 v[6:7], v[8:9], s[8:9], v[6:7]
	v_add_f64 v[4:5], v[10:11], v[4:5]
	v_add_f64 v[4:5], v[4:5], -v[6:7]
	v_fma_f64 v[6:7], v[8:9], s[6:7], v[4:5]
	v_add_f64 v[4:5], v[20:21], v[6:7]
	v_add_f64 v[10:11], v[4:5], -v[20:21]
	v_cvt_i32_f64_e32 v20, v[8:9]
	v_add_f64 v[6:7], v[6:7], -v[10:11]
.LBB0_18:
	s_or_b32 exec_lo, exec_lo, s5
                                        ; implicit-def: $vgpr21
                                        ; implicit-def: $vgpr8_vgpr9
                                        ; implicit-def: $vgpr10_vgpr11
	s_and_saveexec_b32 s5, s4
	s_xor_b32 s4, exec_lo, s5
	s_cbranch_execz .LBB0_25
; %bb.19:
	v_cmp_le_f64_e64 vcc_lo, 0x7b000000, |v[2:3]|
	v_mov_b32_e32 v31, 0
	s_mov_b32 s6, 0x54442d18
	s_mov_b32 s7, 0x3ff921fb
	;; [unrolled: 1-line block ×4, first 2 shown]
	v_cndmask_b32_e32 v9, v22, v19, vcc_lo
	v_cndmask_b32_e32 v8, v2, v18, vcc_lo
	v_mul_f64 v[10:11], v[16:17], v[8:9]
	v_mul_f64 v[18:19], v[14:15], v[8:9]
	;; [unrolled: 1-line block ×3, first 2 shown]
	v_fma_f64 v[16:17], v[16:17], v[8:9], -v[10:11]
	v_fma_f64 v[14:15], v[14:15], v[8:9], -v[18:19]
	;; [unrolled: 1-line block ×3, first 2 shown]
	v_add_f64 v[21:22], v[18:19], v[16:17]
	v_add_f64 v[23:24], v[21:22], -v[18:19]
	v_add_f64 v[27:28], v[10:11], v[21:22]
	v_add_f64 v[25:26], v[21:22], -v[23:24]
	v_add_f64 v[16:17], v[16:17], -v[23:24]
	v_ldexp_f64 v[23:24], v[27:28], -2
	v_add_f64 v[10:11], v[27:28], -v[10:11]
	v_add_f64 v[18:19], v[18:19], -v[25:26]
	v_add_f64 v[25:26], v[29:30], v[14:15]
	v_cmp_neq_f64_e64 vcc_lo, 0x7ff00000, |v[23:24]|
	v_add_f64 v[10:11], v[21:22], -v[10:11]
	v_add_f64 v[16:17], v[16:17], v[18:19]
	v_fract_f64_e32 v[18:19], v[23:24]
	v_add_f64 v[21:22], v[25:26], v[16:17]
	v_ldexp_f64 v[18:19], v[18:19], 2
	v_add_f64 v[23:24], v[10:11], v[21:22]
	v_cndmask_b32_e32 v19, 0, v19, vcc_lo
	v_cndmask_b32_e32 v18, 0, v18, vcc_lo
	v_add_f64 v[27:28], v[23:24], v[18:19]
	v_add_f64 v[10:11], v[23:24], -v[10:11]
	v_cmp_gt_f64_e32 vcc_lo, 0, v[27:28]
	v_add_f64 v[27:28], v[25:26], -v[29:30]
	v_add_f64 v[10:11], v[21:22], -v[10:11]
	v_cndmask_b32_e64 v32, 0, 0x40100000, vcc_lo
	v_add_f64 v[36:37], v[25:26], -v[27:28]
	v_add_f64 v[14:15], v[14:15], -v[27:28]
	v_add_f64 v[18:19], v[18:19], v[31:32]
	v_add_f64 v[32:33], v[21:22], -v[25:26]
	v_add_f64 v[27:28], v[29:30], -v[36:37]
	v_add_f64 v[34:35], v[23:24], v[18:19]
	;; [unrolled: 3-line block ×3, first 2 shown]
	v_cvt_i32_f64_e32 v34, v[34:35]
	v_add_f64 v[25:26], v[25:26], -v[38:39]
	v_cvt_f64_i32_e32 v[32:33], v34
	v_add_f64 v[16:17], v[16:17], v[25:26]
	v_add_f64 v[18:19], v[18:19], -v[32:33]
	v_add_f64 v[12:13], v[14:15], v[16:17]
	v_add_f64 v[14:15], v[23:24], v[18:19]
	;; [unrolled: 1-line block ×3, first 2 shown]
	v_add_f64 v[12:13], v[14:15], -v[18:19]
	v_cmp_le_f64_e32 vcc_lo, 0.5, v[14:15]
	v_add_f64 v[8:9], v[10:11], v[8:9]
	v_add_f64 v[10:11], v[23:24], -v[12:13]
	v_cndmask_b32_e64 v32, 0, 0x3ff00000, vcc_lo
	v_add_co_ci_u32_e64 v21, null, 0, v34, vcc_lo
	v_add_f64 v[8:9], v[8:9], v[10:11]
	v_add_f64 v[10:11], v[14:15], -v[31:32]
	v_add_f64 v[12:13], v[10:11], v[8:9]
	v_mul_f64 v[14:15], v[12:13], s[6:7]
	v_add_f64 v[10:11], v[12:13], -v[10:11]
	v_fma_f64 v[16:17], v[12:13], s[6:7], -v[14:15]
	v_add_f64 v[8:9], v[8:9], -v[10:11]
	v_fma_f64 v[10:11], v[12:13], s[8:9], v[16:17]
	v_fma_f64 v[10:11], v[8:9], s[6:7], v[10:11]
	v_add_f64 v[8:9], v[14:15], v[10:11]
	v_add_f64 v[12:13], v[8:9], -v[14:15]
	v_add_f64 v[10:11], v[10:11], -v[12:13]
	s_andn2_saveexec_b32 s4, s4
	s_cbranch_execnz .LBB0_26
	s_branch .LBB0_27
.LBB0_20:
	s_andn2_saveexec_b32 s4, s4
	s_cbranch_execz .LBB0_22
.LBB0_21:
	s_mov_b32 s6, 0x6dc9c883
	s_mov_b32 s7, 0x3fe45f30
	;; [unrolled: 1-line block ×3, first 2 shown]
	v_mul_f64 v[8:9], |v[2:3]|, s[6:7]
	s_mov_b32 s6, 0x54442d18
	s_mov_b32 s7, 0xbff921fb
	;; [unrolled: 1-line block ×3, first 2 shown]
	v_rndne_f64_e32 v[12:13], v[8:9]
	v_fma_f64 v[8:9], v[12:13], s[6:7], |v[2:3]|
	v_mul_f64 v[10:11], v[12:13], s[8:9]
	s_mov_b32 s6, 0x252049c0
	s_mov_b32 s7, 0xb97b839a
	v_cvt_i32_f64_e32 v21, v[12:13]
	v_fma_f64 v[16:17], v[12:13], s[8:9], v[8:9]
	v_add_f64 v[14:15], v[8:9], v[10:11]
	s_mov_b32 s9, 0x3c91a626
	v_add_f64 v[8:9], v[8:9], -v[14:15]
	v_add_f64 v[14:15], v[14:15], -v[16:17]
	v_add_f64 v[8:9], v[8:9], v[10:11]
	v_fma_f64 v[10:11], v[12:13], s[8:9], v[10:11]
	v_add_f64 v[8:9], v[14:15], v[8:9]
	v_add_f64 v[8:9], v[8:9], -v[10:11]
	v_fma_f64 v[10:11], v[12:13], s[6:7], v[8:9]
	v_add_f64 v[8:9], v[16:17], v[10:11]
	v_add_f64 v[14:15], v[8:9], -v[16:17]
	v_add_f64 v[10:11], v[10:11], -v[14:15]
.LBB0_22:
	s_or_b32 exec_lo, exec_lo, s4
	v_div_scale_f64 v[12:13], null, v[0:1], v[0:1], 0x40140000
	v_div_scale_f64 v[18:19], vcc_lo, 0x40140000, v[0:1], 0x40140000
	s_mov_b32 s4, 0x4c6c651b
	s_mov_b32 s6, 0x13443d69
	;; [unrolled: 1-line block ×8, first 2 shown]
	v_mul_f64 v[26:27], v[4:5], v[4:5]
	s_mov_b32 s12, 0xf9a43bb8
	s_mov_b32 s13, 0x3de5e0b2
	;; [unrolled: 1-line block ×6, first 2 shown]
	v_mul_f64 v[48:49], v[8:9], v[8:9]
	s_mov_b32 s22, 0x19e83e5c
	s_mov_b32 s23, 0xbf2a01a0
	v_rcp_f64_e32 v[14:15], v[12:13]
	s_mov_b32 s20, 0x16c16967
	s_mov_b32 s21, 0xbf56c16c
	;; [unrolled: 1-line block ×4, first 2 shown]
	v_mul_f64 v[28:29], v[26:27], 0.5
	v_mul_f64 v[70:71], v[4:5], -v[26:27]
	v_mul_f64 v[68:69], v[26:27], v[26:27]
	v_mul_f64 v[64:65], v[48:49], 0.5
	v_fma_f64 v[16:17], -v[12:13], v[14:15], 1.0
	v_add_f64 v[34:35], -v[28:29], 1.0
	v_add_f64 v[80:81], -v[64:65], 1.0
	v_fma_f64 v[14:15], v[14:15], v[16:17], v[14:15]
	v_add_f64 v[50:51], -v[34:35], 1.0
	v_fma_f64 v[16:17], -v[12:13], v[14:15], 1.0
	v_add_f64 v[28:29], v[50:51], -v[28:29]
	v_fma_f64 v[14:15], v[14:15], v[16:17], v[14:15]
	v_fma_f64 v[28:29], v[4:5], -v[6:7], v[28:29]
	v_mul_f64 v[16:17], v[18:19], v[14:15]
	v_fma_f64 v[12:13], -v[12:13], v[16:17], v[18:19]
	v_div_fmas_f64 v[12:13], v[12:13], v[14:15], v[16:17]
	v_div_fixup_f64 v[12:13], v[12:13], v[0:1], 0x40140000
	v_mul_f64 v[14:15], v[12:13], v[12:13]
	v_fma_f64 v[16:17], v[14:15], 0, s[6:7]
	v_fma_f64 v[18:19], v[14:15], 0, s[4:5]
	v_fma_f64 v[22:23], v[14:15], 0, s[8:9]
	s_mov_b32 s4, 0xa3fec4b6
	s_mov_b32 s6, 0x5948aa83
	s_mov_b32 s8, 0xc66d8fd6
	s_mov_b32 s5, 0x3fb2b948
	s_mov_b32 s7, 0x3fb19fdd
	s_mov_b32 s9, 0x4013edb5
	v_fma_f64 v[24:25], v[14:15], 0, s[10:11]
	s_mov_b32 s10, 0xa20e5f6f
	s_mov_b32 s11, 0x409081cb
	v_fma_f64 v[16:17], v[14:15], v[16:17], s[6:7]
	v_fma_f64 v[18:19], v[14:15], v[18:19], s[4:5]
	v_fma_f64 v[22:23], v[14:15], v[22:23], s[8:9]
	s_mov_b32 s4, 0xc21596d6
	s_mov_b32 s6, 0xb850eed6
	s_mov_b32 s8, 0x9acf1c67
	s_mov_b32 s5, 0x3ff208fe
	s_mov_b32 s7, 0x3ff1aea9
	s_mov_b32 s9, 0x4052f4b9
	v_fma_f64 v[24:25], v[14:15], v[24:25], s[10:11]
	s_mov_b32 s10, 0x1bfdfe81
	s_mov_b32 s11, 0x40b37a69
	;; [unrolled: 12-line block ×6, first 2 shown]
	v_fma_f64 v[30:31], v[26:27], s[8:9], s[6:7]
	v_fma_f64 v[16:17], v[14:15], v[16:17], 1.0
	v_fma_f64 v[18:19], v[14:15], v[18:19], 1.0
	v_fma_f64 v[22:23], v[14:15], v[22:23], s[4:5]
	s_mov_b32 s4, 0x4d159eb5
	s_mov_b32 s5, 0x403934ff
	v_fma_f64 v[24:25], v[14:15], v[24:25], s[10:11]
	s_mov_b32 s10, 0xa17f65f6
	s_mov_b32 s11, 0xbe927e4f
	v_fma_f64 v[30:31], v[26:27], v[30:31], s[10:11]
	v_div_scale_f64 v[32:33], null, v[16:17], v[16:17], v[18:19]
	v_fma_f64 v[14:15], v[14:15], v[22:23], s[4:5]
	s_mov_b32 s4, 0xb42fdfa7
	s_mov_b32 s5, 0xbe5ae600
	v_fma_f64 v[22:23], v[26:27], s[12:13], s[4:5]
	v_fma_f64 v[66:67], v[48:49], s[12:13], s[4:5]
	v_cmp_gt_f64_e64 s4, 0x10000000, v[0:1]
	s_mov_b32 s12, 0x55555555
	s_mov_b32 s13, 0x3fa55555
	v_fma_f64 v[30:31], v[26:27], v[30:31], s[14:15]
	v_rcp_f64_e32 v[36:37], v[32:33]
	v_div_scale_f64 v[38:39], null, v[24:25], v[24:25], v[14:15]
	v_fma_f64 v[22:23], v[26:27], v[22:23], s[18:19]
	v_fma_f64 v[66:67], v[48:49], v[66:67], s[18:19]
	v_fma_f64 v[30:31], v[26:27], v[30:31], s[20:21]
	v_rcp_f64_e32 v[52:53], v[38:39]
	v_fma_f64 v[54:55], -v[32:33], v[36:37], 1.0
	v_fma_f64 v[22:23], v[26:27], v[22:23], s[22:23]
	v_fma_f64 v[66:67], v[48:49], v[66:67], s[22:23]
	;; [unrolled: 1-line block ×4, first 2 shown]
	v_fma_f64 v[50:51], -v[38:39], v[52:53], 1.0
	v_mul_f64 v[54:55], v[6:7], 0.5
	v_fma_f64 v[22:23], v[26:27], v[22:23], s[24:25]
	v_fma_f64 v[28:29], v[68:69], v[30:31], v[28:29]
	v_div_scale_f64 v[30:31], vcc_lo, v[18:19], v[16:17], v[18:19]
	v_fma_f64 v[82:83], -v[32:33], v[36:37], 1.0
	v_fma_f64 v[50:51], v[52:53], v[50:51], v[52:53]
	v_cndmask_b32_e64 v52, 0, 0x100, s4
	v_fma_f64 v[22:23], v[70:71], v[22:23], v[54:55]
	v_add_f64 v[54:55], -v[80:81], 1.0
	v_ldexp_f64 v[0:1], v[0:1], v52
	v_fma_f64 v[52:53], v[48:49], s[8:9], s[6:7]
	v_add_f64 v[28:29], v[34:35], v[28:29]
	v_fma_f64 v[36:37], v[36:37], v[82:83], v[36:37]
	v_fma_f64 v[68:69], -v[38:39], v[50:51], 1.0
	v_mul_f64 v[82:83], v[10:11], 0.5
	v_fma_f64 v[6:7], v[26:27], v[22:23], -v[6:7]
	v_mul_f64 v[22:23], v[8:9], -v[48:49]
	v_add_f64 v[54:55], v[54:55], -v[64:65]
	v_fma_f64 v[64:65], v[48:49], v[66:67], s[24:25]
	v_rsq_f64_e32 v[26:27], v[0:1]
	v_fma_f64 v[52:53], v[48:49], v[52:53], s[10:11]
	v_mul_f64 v[66:67], v[30:31], v[36:37]
	v_fma_f64 v[50:51], v[50:51], v[68:69], v[50:51]
	v_div_scale_f64 v[68:69], s5, v[14:15], v[24:25], v[14:15]
	v_fma_f64 v[64:65], v[22:23], v[64:65], v[82:83]
	v_fma_f64 v[52:53], v[48:49], v[52:53], s[14:15]
	v_mul_f64 v[82:83], v[0:1], v[26:27]
	v_mul_f64 v[26:27], v[26:27], 0.5
	v_fma_f64 v[30:31], -v[32:33], v[66:67], v[30:31]
	v_mul_f64 v[32:33], v[68:69], v[50:51]
	v_fma_f64 v[64:65], v[48:49], v[64:65], -v[10:11]
	v_fma_f64 v[10:11], v[8:9], -v[10:11], v[54:55]
	v_fma_f64 v[52:53], v[48:49], v[52:53], s[20:21]
	v_div_fmas_f64 v[30:31], v[30:31], v[36:37], v[66:67]
	s_mov_b32 vcc_lo, s5
	v_fma_f64 v[38:39], -v[38:39], v[32:33], v[68:69]
	v_fma_f64 v[68:69], -v[26:27], v[82:83], 0.5
	v_cmp_class_f64_e64 s5, v[2:3], 0x1f8
	v_fma_f64 v[52:53], v[48:49], v[52:53], s[12:13]
	v_mul_f64 v[48:49], v[48:49], v[48:49]
	s_mov_b32 s13, 0xbfc55555
	v_fma_f64 v[6:7], v[70:71], s[12:13], v[6:7]
	v_fma_f64 v[22:23], v[22:23], s[12:13], v[64:65]
	v_div_fmas_f64 v[32:33], v[38:39], v[50:51], v[32:33]
	v_fma_f64 v[54:55], v[82:83], v[68:69], v[82:83]
	v_fma_f64 v[26:27], v[26:27], v[68:69], v[26:27]
	v_fma_f64 v[10:11], v[48:49], v[52:53], v[10:11]
	v_add_f64 v[4:5], v[4:5], -v[6:7]
	v_add_f64 v[8:9], v[8:9], -v[22:23]
	v_and_b32_e32 v22, 1, v20
	v_lshlrev_b32_e32 v23, 30, v21
	v_and_b32_e32 v21, 1, v21
	v_cmp_eq_u32_e32 vcc_lo, 0, v22
	v_xor_b32_e32 v22, v23, v3
	v_cmp_eq_u32_e64 s6, 0, v21
	v_div_fixup_f64 v[6:7], v[32:33], v[24:25], v[14:15]
	v_fma_f64 v[36:37], -v[54:55], v[54:55], v[0:1]
	v_add_f64 v[10:11], v[80:81], v[10:11]
	v_xor_b32_e32 v5, 0x80000000, v5
	v_cndmask_b32_e32 v4, v4, v28, vcc_lo
	v_cndmask_b32_e32 v5, v5, v29, vcc_lo
	v_cndmask_b32_e64 v4, 0, v4, s5
	v_cmp_class_f64_e64 vcc_lo, v[0:1], 0x260
	v_mul_f64 v[2:3], v[12:13], v[6:7]
	v_fma_f64 v[14:15], v[36:37], v[26:27], v[54:55]
	v_and_b32_e32 v6, 0x80000000, v22
	v_cndmask_b32_e64 v7, v11, v9, s6
	v_cndmask_b32_e64 v8, v10, v8, s6
	v_div_fixup_f64 v[10:11], v[30:31], v[16:17], v[18:19]
	v_xor_b32_e32 v9, v7, v6
	v_cndmask_b32_e64 v8, 0, v8, s5
	v_cndmask_b32_e64 v9, 0x7ff80000, v9, s5
	v_mul_f64 v[2:3], v[2:3], v[8:9]
	v_fma_f64 v[6:7], -v[14:15], v[14:15], v[0:1]
	v_lshlrev_b32_e32 v8, 30, v20
	v_and_b32_e32 v8, 0x80000000, v8
	v_xor_b32_e32 v5, v5, v8
	v_cndmask_b32_e64 v5, 0x7ff80000, v5, s5
	v_fma_f64 v[2:3], v[10:11], v[4:5], -v[2:3]
	v_fma_f64 v[6:7], v[6:7], v[26:27], v[14:15]
	v_cndmask_b32_e64 v4, 0, 0xffffff80, s4
	s_mov_b32 s4, 0x33d43651
	s_mov_b32 s5, 0x3fe98845
	v_mul_f64 v[2:3], v[2:3], s[4:5]
	v_ldexp_f64 v[4:5], v[6:7], v4
	v_cndmask_b32_e32 v1, v5, v1, vcc_lo
	v_cndmask_b32_e32 v0, v4, v0, vcc_lo
	v_div_scale_f64 v[4:5], null, v[0:1], v[0:1], v[2:3]
	v_rcp_f64_e32 v[6:7], v[4:5]
	v_fma_f64 v[8:9], -v[4:5], v[6:7], 1.0
	v_fma_f64 v[6:7], v[6:7], v[8:9], v[6:7]
	v_fma_f64 v[8:9], -v[4:5], v[6:7], 1.0
	v_fma_f64 v[6:7], v[6:7], v[8:9], v[6:7]
	v_div_scale_f64 v[8:9], vcc_lo, v[2:3], v[0:1], v[2:3]
	v_mul_f64 v[10:11], v[8:9], v[6:7]
	v_fma_f64 v[4:5], -v[4:5], v[10:11], v[8:9]
	v_div_fmas_f64 v[4:5], v[4:5], v[6:7], v[10:11]
	v_div_fixup_f64 v[2:3], v[4:5], v[0:1], v[2:3]
.LBB0_23:
	s_or_b32 exec_lo, exec_lo, s17
                                        ; implicit-def: $vgpr0_vgpr1
	s_andn2_saveexec_b32 s18, s16
	s_cbranch_execnz .LBB0_7
.LBB0_24:
	s_or_b32 exec_lo, exec_lo, s18
	v_mov_b32_e32 v0, v2
	v_mov_b32_e32 v1, v3
	s_setpc_b64 s[30:31]
.LBB0_25:
	s_andn2_saveexec_b32 s4, s4
	s_cbranch_execz .LBB0_27
.LBB0_26:
	s_mov_b32 s6, 0x6dc9c883
	s_mov_b32 s7, 0x3fe45f30
	s_mov_b32 s9, 0xbc91a626
	v_mul_f64 v[8:9], |v[2:3]|, s[6:7]
	s_mov_b32 s6, 0x54442d18
	s_mov_b32 s7, 0xbff921fb
	s_mov_b32 s8, 0x33145c00
	v_rndne_f64_e32 v[12:13], v[8:9]
	v_fma_f64 v[8:9], v[12:13], s[6:7], |v[2:3]|
	v_mul_f64 v[10:11], v[12:13], s[8:9]
	s_mov_b32 s6, 0x252049c0
	s_mov_b32 s7, 0xb97b839a
	v_cvt_i32_f64_e32 v21, v[12:13]
	v_fma_f64 v[16:17], v[12:13], s[8:9], v[8:9]
	v_add_f64 v[14:15], v[8:9], v[10:11]
	s_mov_b32 s9, 0x3c91a626
	v_add_f64 v[8:9], v[8:9], -v[14:15]
	v_add_f64 v[14:15], v[14:15], -v[16:17]
	v_add_f64 v[8:9], v[8:9], v[10:11]
	v_fma_f64 v[10:11], v[12:13], s[8:9], v[10:11]
	v_add_f64 v[8:9], v[14:15], v[8:9]
	v_add_f64 v[8:9], v[8:9], -v[10:11]
	v_fma_f64 v[10:11], v[12:13], s[6:7], v[8:9]
	v_add_f64 v[8:9], v[16:17], v[10:11]
	v_add_f64 v[14:15], v[8:9], -v[16:17]
	v_add_f64 v[10:11], v[10:11], -v[14:15]
.LBB0_27:
	s_or_b32 exec_lo, exec_lo, s4
	v_div_scale_f64 v[12:13], null, v[0:1], v[0:1], 0xc0140000
	v_div_scale_f64 v[18:19], vcc_lo, 0xc0140000, v[0:1], 0xc0140000
	s_mov_b32 s4, 0x4c6c651b
	s_mov_b32 s5, 0x3f48f92c
	;; [unrolled: 1-line block ×8, first 2 shown]
	v_mul_f64 v[28:29], v[4:5], v[4:5]
	s_mov_b32 s12, 0x4d159eb5
	s_mov_b32 s14, 0x6ae75997
	;; [unrolled: 1-line block ×4, first 2 shown]
	v_div_scale_f64 v[38:39], null, v[0:1], v[0:1], 0x40140000
	s_mov_b32 s20, 0x796cde01
	s_mov_b32 s21, 0x3ec71de3
	;; [unrolled: 1-line block ×3, first 2 shown]
	v_rcp_f64_e32 v[14:15], v[12:13]
	s_mov_b32 s23, 0xbf2a01a0
	s_mov_b32 s16, 0x16c16967
	s_mov_b32 s17, 0xbf56c16c
	v_mul_f64 v[70:71], v[6:7], 0.5
	v_mul_f64 v[36:37], v[28:29], 0.5
	v_mul_f64 v[80:81], v[4:5], -v[28:29]
	v_rcp_f64_e32 v[48:49], v[38:39]
	v_fma_f64 v[16:17], -v[12:13], v[14:15], 1.0
	v_fma_f64 v[68:69], -v[38:39], v[48:49], 1.0
	v_fma_f64 v[14:15], v[14:15], v[16:17], v[14:15]
	v_fma_f64 v[48:49], v[48:49], v[68:69], v[48:49]
	v_fma_f64 v[16:17], -v[12:13], v[14:15], 1.0
	v_fma_f64 v[14:15], v[14:15], v[16:17], v[14:15]
	v_mul_f64 v[16:17], v[18:19], v[14:15]
	v_fma_f64 v[12:13], -v[12:13], v[16:17], v[18:19]
	v_div_fmas_f64 v[12:13], v[12:13], v[14:15], v[16:17]
	v_div_fixup_f64 v[12:13], v[12:13], v[0:1], 0xc0140000
	v_mul_f64 v[12:13], v[12:13], v[12:13]
	v_fma_f64 v[16:17], v[12:13], 0, s[4:5]
	v_fma_f64 v[14:15], v[12:13], 0, s[6:7]
	s_mov_b32 s4, 0xa3fec4b6
	s_mov_b32 s5, 0x3fb2b948
	;; [unrolled: 1-line block ×4, first 2 shown]
	v_fma_f64 v[22:23], v[12:13], 0, s[10:11]
	s_mov_b32 s10, 0xa20e5f6f
	s_mov_b32 s11, 0x409081cb
	v_fma_f64 v[16:17], v[12:13], v[16:17], s[4:5]
	v_fma_f64 v[14:15], v[12:13], v[14:15], s[6:7]
	s_mov_b32 s4, 0xc21596d6
	s_mov_b32 s5, 0x3ff208fe
	;; [unrolled: 1-line block ×4, first 2 shown]
	v_fma_f64 v[22:23], v[12:13], v[22:23], s[10:11]
	s_mov_b32 s10, 0xf9a43bb8
	s_mov_b32 s11, 0x3de5e0b2
	v_fma_f64 v[16:17], v[12:13], v[16:17], s[4:5]
	v_fma_f64 v[14:15], v[12:13], v[14:15], s[6:7]
	s_mov_b32 s4, 0xf8b13a6a
	s_mov_b32 s5, 0x401472c4
	;; [unrolled: 1-line block ×4, first 2 shown]
	v_fma_f64 v[16:17], v[12:13], v[16:17], s[4:5]
	s_mov_b32 s4, 0x6b70ba40
	v_fma_f64 v[14:15], v[12:13], v[14:15], s[6:7]
	s_mov_b32 s5, 0x3faa27fa
	s_mov_b32 s6, 0xdda2fd65
	v_fma_f64 v[18:19], v[12:13], 0, s[4:5]
	s_mov_b32 s4, 0x8b5d2f16
	s_mov_b32 s5, 0x4020d91c
	;; [unrolled: 1-line block ×3, first 2 shown]
	v_fma_f64 v[16:17], v[12:13], v[16:17], s[4:5]
	s_mov_b32 s4, 0x142f81a2
	v_fma_f64 v[14:15], v[12:13], v[14:15], s[6:7]
	s_mov_b32 s6, 0x4762b4d9
	s_mov_b32 s5, 0x4014dbaa
	v_fma_f64 v[18:19], v[12:13], v[18:19], s[8:9]
	s_mov_b32 s7, 0x4014d6dd
	s_mov_b32 s8, 0x9acf1c67
	;; [unrolled: 1-line block ×3, first 2 shown]
	v_fma_f64 v[16:17], v[12:13], v[16:17], s[4:5]
	s_mov_b32 s4, 0x47aa180d
	v_fma_f64 v[14:15], v[12:13], v[14:15], s[6:7]
	s_mov_b32 s6, 0x1bfdfe81
	s_mov_b32 s5, 0x4076ec79
	v_fma_f64 v[18:19], v[12:13], v[18:19], s[8:9]
	s_mov_b32 s7, 0x40b37a69
	;; [unrolled: 3-line block ×3, first 2 shown]
	s_mov_b32 s7, 0x40c2ad28
	s_mov_b32 s9, 0x40a61462
	v_fma_f64 v[16:17], v[12:13], v[16:17], 1.0
	v_fma_f64 v[14:15], v[12:13], v[14:15], 1.0
	v_fma_f64 v[18:19], v[12:13], v[18:19], s[4:5]
	s_mov_b32 s4, 0xb66f6e50
	s_mov_b32 s5, 0x408636d9
	v_fma_f64 v[22:23], v[12:13], v[22:23], s[6:7]
	s_mov_b32 s6, 0xa6973d14
	s_mov_b32 s7, 0x40bf3d0a
	v_div_scale_f64 v[24:25], null, v[14:15], v[14:15], v[16:17]
	v_div_scale_f64 v[66:67], vcc_lo, v[16:17], v[14:15], v[16:17]
	v_fma_f64 v[18:19], v[12:13], v[18:19], s[4:5]
	s_mov_b32 s4, 0xb9e802d0
	s_mov_b32 s5, 0x4082abea
	v_fma_f64 v[22:23], v[12:13], v[22:23], s[6:7]
	s_mov_b32 s6, 0x9037ab78
	s_mov_b32 s7, 0x3e21eeb6
	v_rcp_f64_e32 v[26:27], v[24:25]
	v_fma_f64 v[18:19], v[12:13], v[18:19], s[4:5]
	s_mov_b32 s4, 0x4c54bb0b
	s_mov_b32 s5, 0x406a760a
	v_fma_f64 v[22:23], v[12:13], v[22:23], s[8:9]
	s_mov_b32 s8, 0x46cc5e42
	s_mov_b32 s9, 0xbda907db
	v_fma_f64 v[34:35], v[28:29], s[8:9], s[6:7]
	v_fma_f64 v[30:31], -v[24:25], v[26:27], 1.0
	v_fma_f64 v[18:19], v[12:13], v[18:19], s[4:5]
	s_mov_b32 s4, 0xb42fdfa7
	s_mov_b32 s5, 0xbe5ae600
	v_fma_f64 v[22:23], v[12:13], v[22:23], s[14:15]
	v_fma_f64 v[32:33], v[28:29], s[10:11], s[4:5]
	s_mov_b32 s14, 0x19f4ec90
	s_mov_b32 s15, 0x3efa01a0
	v_fma_f64 v[26:27], v[26:27], v[30:31], v[26:27]
	;; [unrolled: 4-line block ×3, first 2 shown]
	v_fma_f64 v[30:31], v[28:29], v[34:35], s[12:13]
	v_add_f64 v[32:33], -v[36:37], 1.0
	v_mul_f64 v[34:35], v[8:9], v[8:9]
	v_fma_f64 v[50:51], -v[24:25], v[26:27], 1.0
	v_div_scale_f64 v[52:53], null, v[22:23], v[22:23], v[12:13]
	v_fma_f64 v[18:19], v[28:29], v[18:19], s[22:23]
	v_fma_f64 v[30:31], v[28:29], v[30:31], s[14:15]
	v_add_f64 v[54:55], -v[32:33], 1.0
	v_fma_f64 v[64:65], v[34:35], s[10:11], s[4:5]
	s_mov_b32 s10, 0x11110bb3
	s_mov_b32 s11, 0x3f811111
	v_cmp_lt_f64_e64 s4, 0x90000000, v[0:1]
	v_fma_f64 v[26:27], v[26:27], v[50:51], v[26:27]
	v_rcp_f64_e32 v[50:51], v[52:53]
	v_fma_f64 v[18:19], v[28:29], v[18:19], s[10:11]
	v_fma_f64 v[30:31], v[28:29], v[30:31], s[16:17]
	v_add_f64 v[36:37], v[54:55], -v[36:37]
	v_mul_f64 v[54:55], v[34:35], 0.5
	v_fma_f64 v[64:65], v[34:35], v[64:65], s[20:21]
	s_mov_b32 s20, 0x55555555
	s_mov_b32 s21, 0x3fa55555
	v_mul_f64 v[82:83], v[66:67], v[26:27]
	v_fma_f64 v[68:69], -v[52:53], v[50:51], 1.0
	v_fma_f64 v[18:19], v[80:81], v[18:19], v[70:71]
	v_mul_f64 v[70:71], v[28:29], v[28:29]
	v_fma_f64 v[30:31], v[28:29], v[30:31], s[20:21]
	v_fma_f64 v[36:37], v[4:5], -v[6:7], v[36:37]
	v_fma_f64 v[64:65], v[34:35], v[64:65], s[22:23]
	v_fma_f64 v[24:25], -v[24:25], v[82:83], v[66:67]
	v_add_f64 v[66:67], -v[54:55], 1.0
	v_fma_f64 v[50:51], v[50:51], v[68:69], v[50:51]
	v_fma_f64 v[68:69], -v[38:39], v[48:49], 1.0
	v_fma_f64 v[6:7], v[28:29], v[18:19], -v[6:7]
	v_mul_f64 v[18:19], v[10:11], 0.5
	v_fma_f64 v[30:31], v[70:71], v[30:31], v[36:37]
	v_cndmask_b32_e64 v70, 0, 0x100, s4
	v_div_scale_f64 v[36:37], s5, 0x40140000, v[0:1], 0x40140000
	v_fma_f64 v[64:65], v[34:35], v[64:65], s[10:11]
	v_ldexp_f64 v[28:29], -v[0:1], v70
	v_fma_f64 v[70:71], v[34:35], s[8:9], s[6:7]
	v_div_fmas_f64 v[24:25], v[24:25], v[26:27], v[82:83]
	v_add_f64 v[26:27], -v[66:67], 1.0
	v_mul_f64 v[82:83], v[8:9], -v[34:35]
	s_mov_b32 vcc_lo, s5
	v_cmp_class_f64_e64 s5, v[2:3], 0x1f8
	v_fma_f64 v[48:49], v[48:49], v[68:69], v[48:49]
	v_fma_f64 v[68:69], -v[52:53], v[50:51], 1.0
	v_and_b32_e32 v2, 1, v21
	v_add_f64 v[30:31], v[32:33], v[30:31]
	v_fma_f64 v[70:71], v[34:35], v[70:71], s[12:13]
	v_add_f64 v[26:27], v[26:27], -v[54:55]
	v_rsq_f64_e32 v[54:55], v[28:29]
	v_fma_f64 v[18:19], v[82:83], v[64:65], v[18:19]
	v_mul_f64 v[64:65], v[36:37], v[48:49]
	v_fma_f64 v[50:51], v[50:51], v[68:69], v[50:51]
	v_div_scale_f64 v[68:69], s6, v[12:13], v[22:23], v[12:13]
	v_fma_f64 v[70:71], v[34:35], v[70:71], s[14:15]
	v_fma_f64 v[26:27], v[8:9], -v[10:11], v[26:27]
	v_fma_f64 v[10:11], v[34:35], v[18:19], -v[10:11]
	v_mul_f64 v[18:19], v[28:29], v[54:55]
	v_fma_f64 v[36:37], -v[38:39], v[64:65], v[36:37]
	v_mul_f64 v[54:55], v[54:55], 0.5
	v_mul_f64 v[38:39], v[68:69], v[50:51]
	v_fma_f64 v[70:71], v[34:35], v[70:71], s[16:17]
	v_div_fmas_f64 v[36:37], v[36:37], v[48:49], v[64:65]
	s_mov_b32 vcc_lo, s6
	v_fma_f64 v[52:53], -v[52:53], v[38:39], v[68:69]
	v_fma_f64 v[68:69], -v[54:55], v[18:19], 0.5
	v_cmp_eq_u32_e64 s6, 0, v2
	v_fma_f64 v[70:71], v[34:35], v[70:71], s[20:21]
	v_mul_f64 v[34:35], v[34:35], v[34:35]
	s_mov_b32 s21, 0xbfc55555
	v_fma_f64 v[6:7], v[80:81], s[20:21], v[6:7]
	v_fma_f64 v[10:11], v[82:83], s[20:21], v[10:11]
	v_div_fixup_f64 v[0:1], v[36:37], v[0:1], 0x40140000
	v_div_fmas_f64 v[38:39], v[52:53], v[50:51], v[38:39]
	v_fma_f64 v[18:19], v[18:19], v[68:69], v[18:19]
	v_fma_f64 v[26:27], v[34:35], v[70:71], v[26:27]
	;; [unrolled: 1-line block ×3, first 2 shown]
	v_add_f64 v[4:5], v[4:5], -v[6:7]
	v_add_f64 v[8:9], v[8:9], -v[10:11]
	v_div_fixup_f64 v[6:7], v[38:39], v[22:23], v[12:13]
	v_fma_f64 v[48:49], -v[18:19], v[18:19], v[28:29]
	v_lshlrev_b32_e32 v23, 30, v21
	v_and_b32_e32 v22, 1, v20
	v_xor_b32_e32 v3, v23, v3
	v_cmp_eq_u32_e32 vcc_lo, 0, v22
	v_add_f64 v[12:13], v[66:67], v[26:27]
	v_and_b32_e32 v2, 0x80000000, v3
	v_xor_b32_e32 v5, 0x80000000, v5
	v_cndmask_b32_e32 v4, v4, v30, vcc_lo
	v_cndmask_b32_e32 v5, v5, v31, vcc_lo
	v_cndmask_b32_e64 v4, 0, v4, s5
	v_cmp_class_f64_e64 vcc_lo, v[28:29], 0x260
	v_mul_f64 v[0:1], v[0:1], v[6:7]
	v_fma_f64 v[10:11], v[48:49], v[34:35], v[18:19]
	v_cndmask_b32_e64 v3, v13, v9, s6
	v_cndmask_b32_e64 v6, v12, v8, s6
	v_div_fixup_f64 v[8:9], v[24:25], v[14:15], v[16:17]
	v_xor_b32_e32 v7, v3, v2
	v_cndmask_b32_e64 v6, 0, v6, s5
	v_cndmask_b32_e64 v7, 0x7ff80000, v7, s5
	v_fma_f64 v[2:3], -v[10:11], v[10:11], v[28:29]
	v_mul_f64 v[0:1], v[0:1], v[6:7]
	v_lshlrev_b32_e32 v6, 30, v20
	v_and_b32_e32 v6, 0x80000000, v6
	v_xor_b32_e32 v5, v5, v6
	v_cndmask_b32_e64 v5, 0x7ff80000, v5, s5
	v_fma_f64 v[2:3], v[2:3], v[34:35], v[10:11]
	v_fma_f64 v[0:1], v[8:9], v[4:5], v[0:1]
	v_cndmask_b32_e64 v4, 0, 0xffffff80, s4
	s_mov_b32 s4, 0x33d43651
	s_mov_b32 s5, 0x3fe98845
	v_ldexp_f64 v[2:3], v[2:3], v4
	v_mul_f64 v[0:1], v[0:1], s[4:5]
	v_cndmask_b32_e32 v3, v3, v29, vcc_lo
	v_cndmask_b32_e32 v2, v2, v28, vcc_lo
	v_div_scale_f64 v[4:5], null, v[2:3], v[2:3], v[0:1]
	v_rcp_f64_e32 v[6:7], v[4:5]
	v_fma_f64 v[8:9], -v[4:5], v[6:7], 1.0
	v_fma_f64 v[6:7], v[6:7], v[8:9], v[6:7]
	v_fma_f64 v[8:9], -v[4:5], v[6:7], 1.0
	v_fma_f64 v[6:7], v[6:7], v[8:9], v[6:7]
	v_div_scale_f64 v[8:9], vcc_lo, v[0:1], v[2:3], v[0:1]
	v_mul_f64 v[10:11], v[8:9], v[6:7]
	v_fma_f64 v[4:5], -v[4:5], v[10:11], v[8:9]
	v_div_fmas_f64 v[4:5], v[4:5], v[6:7], v[10:11]
	v_div_fixup_f64 v[2:3], v[4:5], v[2:3], v[0:1]
.LBB0_28:
	s_or_b32 exec_lo, exec_lo, s19
	v_xor_b32_e32 v3, 0x80000000, v3
	s_or_b32 exec_lo, exec_lo, s18
	v_mov_b32_e32 v0, v2
	v_mov_b32_e32 v1, v3
	s_setpc_b64 s[30:31]
.Lfunc_end0:
	.size	_ZZZZN2at6native12_GLOBAL__N_121bessel_j1_kernel_cudaERNS_18TensorIteratorBaseEENKUlvE_clEvENKUlvE_clEvENKUldE_clEd, .Lfunc_end0-_ZZZZN2at6native12_GLOBAL__N_121bessel_j1_kernel_cudaERNS_18TensorIteratorBaseEENKUlvE_clEvENKUlvE_clEvENKUldE_clEd
                                        ; -- End function
	.set .L_ZZZZN2at6native12_GLOBAL__N_121bessel_j1_kernel_cudaERNS_18TensorIteratorBaseEENKUlvE_clEvENKUlvE_clEvENKUldE_clEd.num_vgpr, 84
	.set .L_ZZZZN2at6native12_GLOBAL__N_121bessel_j1_kernel_cudaERNS_18TensorIteratorBaseEENKUlvE_clEvENKUlvE_clEvENKUldE_clEd.num_agpr, 0
	.set .L_ZZZZN2at6native12_GLOBAL__N_121bessel_j1_kernel_cudaERNS_18TensorIteratorBaseEENKUlvE_clEvENKUlvE_clEvENKUldE_clEd.numbered_sgpr, 32
	.set .L_ZZZZN2at6native12_GLOBAL__N_121bessel_j1_kernel_cudaERNS_18TensorIteratorBaseEENKUlvE_clEvENKUlvE_clEvENKUldE_clEd.num_named_barrier, 0
	.set .L_ZZZZN2at6native12_GLOBAL__N_121bessel_j1_kernel_cudaERNS_18TensorIteratorBaseEENKUlvE_clEvENKUlvE_clEvENKUldE_clEd.private_seg_size, 0
	.set .L_ZZZZN2at6native12_GLOBAL__N_121bessel_j1_kernel_cudaERNS_18TensorIteratorBaseEENKUlvE_clEvENKUlvE_clEvENKUldE_clEd.uses_vcc, 1
	.set .L_ZZZZN2at6native12_GLOBAL__N_121bessel_j1_kernel_cudaERNS_18TensorIteratorBaseEENKUlvE_clEvENKUlvE_clEvENKUldE_clEd.uses_flat_scratch, 0
	.set .L_ZZZZN2at6native12_GLOBAL__N_121bessel_j1_kernel_cudaERNS_18TensorIteratorBaseEENKUlvE_clEvENKUlvE_clEvENKUldE_clEd.has_dyn_sized_stack, 0
	.set .L_ZZZZN2at6native12_GLOBAL__N_121bessel_j1_kernel_cudaERNS_18TensorIteratorBaseEENKUlvE_clEvENKUlvE_clEvENKUldE_clEd.has_recursion, 0
	.set .L_ZZZZN2at6native12_GLOBAL__N_121bessel_j1_kernel_cudaERNS_18TensorIteratorBaseEENKUlvE_clEvENKUlvE_clEvENKUldE_clEd.has_indirect_call, 0
	.section	.AMDGPU.csdata,"",@progbits
; Function info:
; codeLenInByte = 8344
; TotalNumSgprs: 34
; NumVgprs: 84
; ScratchSize: 0
; MemoryBound: 0
	.section	.text._ZN2at6native29vectorized_elementwise_kernelILi16EZZZNS0_12_GLOBAL__N_121bessel_j1_kernel_cudaERNS_18TensorIteratorBaseEENKUlvE_clEvENKUlvE_clEvEUldE_St5arrayIPcLm2EEEEviT0_T1_,"axG",@progbits,_ZN2at6native29vectorized_elementwise_kernelILi16EZZZNS0_12_GLOBAL__N_121bessel_j1_kernel_cudaERNS_18TensorIteratorBaseEENKUlvE_clEvENKUlvE_clEvEUldE_St5arrayIPcLm2EEEEviT0_T1_,comdat
	.globl	_ZN2at6native29vectorized_elementwise_kernelILi16EZZZNS0_12_GLOBAL__N_121bessel_j1_kernel_cudaERNS_18TensorIteratorBaseEENKUlvE_clEvENKUlvE_clEvEUldE_St5arrayIPcLm2EEEEviT0_T1_ ; -- Begin function _ZN2at6native29vectorized_elementwise_kernelILi16EZZZNS0_12_GLOBAL__N_121bessel_j1_kernel_cudaERNS_18TensorIteratorBaseEENKUlvE_clEvENKUlvE_clEvEUldE_St5arrayIPcLm2EEEEviT0_T1_
	.p2align	8
	.type	_ZN2at6native29vectorized_elementwise_kernelILi16EZZZNS0_12_GLOBAL__N_121bessel_j1_kernel_cudaERNS_18TensorIteratorBaseEENKUlvE_clEvENKUlvE_clEvEUldE_St5arrayIPcLm2EEEEviT0_T1_,@function
_ZN2at6native29vectorized_elementwise_kernelILi16EZZZNS0_12_GLOBAL__N_121bessel_j1_kernel_cudaERNS_18TensorIteratorBaseEENKUlvE_clEvENKUlvE_clEvEUldE_St5arrayIPcLm2EEEEviT0_T1_: ; @_ZN2at6native29vectorized_elementwise_kernelILi16EZZZNS0_12_GLOBAL__N_121bessel_j1_kernel_cudaERNS_18TensorIteratorBaseEENKUlvE_clEvENKUlvE_clEvEUldE_St5arrayIPcLm2EEEEviT0_T1_
; %bb.0:
	s_add_u32 s0, s0, s7
	s_clause 0x1
	s_load_dword s7, s[4:5], 0x0
	s_load_dwordx4 s[36:39], s[4:5], 0x8
	s_addc_u32 s1, s1, 0
	s_lshl_b32 s28, s6, 10
	v_mov_b32_e32 v46, v0
	s_mov_b32 s4, -1
	s_mov_b32 s32, 0
	s_waitcnt lgkmcnt(0)
	s_sub_i32 s27, s7, s28
	s_cmpk_gt_i32 s27, 0x3ff
	s_cbranch_scc0 .LBB1_2
; %bb.1:
	s_ashr_i32 s29, s28, 31
	v_lshlrev_b32_e32 v44, 5, v46
	s_lshl_b64 s[34:35], s[28:29], 3
	s_add_u32 s4, s38, s34
	s_addc_u32 s5, s39, s35
	s_getpc_b64 s[40:41]
	s_add_u32 s40, s40, _ZZZZN2at6native12_GLOBAL__N_121bessel_j1_kernel_cudaERNS_18TensorIteratorBaseEENKUlvE_clEvENKUlvE_clEvENKUldE_clEd@rel32@lo+4
	s_addc_u32 s41, s41, _ZZZZN2at6native12_GLOBAL__N_121bessel_j1_kernel_cudaERNS_18TensorIteratorBaseEENKUlvE_clEvENKUlvE_clEvENKUldE_clEd@rel32@hi+12
	s_clause 0x1
	global_load_dwordx4 v[40:43], v44, s[4:5]
	global_load_dwordx4 v[56:59], v44, s[4:5] offset:16
	s_waitcnt vmcnt(1)
	v_mov_b32_e32 v0, v40
	v_mov_b32_e32 v1, v41
	s_swappc_b64 s[30:31], s[40:41]
	v_mov_b32_e32 v40, v0
	v_mov_b32_e32 v41, v1
	v_mov_b32_e32 v0, v42
	v_mov_b32_e32 v1, v43
	s_swappc_b64 s[30:31], s[40:41]
	v_mov_b32_e32 v42, v0
	v_mov_b32_e32 v43, v1
	;; [unrolled: 5-line block ×4, first 2 shown]
	s_add_u32 s6, s36, s34
	s_addc_u32 s7, s37, s35
	s_mov_b32 s4, 0
	global_store_dwordx4 v44, v[40:43], s[6:7]
	global_store_dwordx4 v44, v[56:59], s[6:7] offset:16
.LBB1_2:
	s_andn2_b32 vcc_lo, exec_lo, s4
	s_cbranch_vccnz .LBB1_23
; %bb.3:
	v_mov_b32_e32 v42, 0
	v_mov_b32_e32 v0, 0
	v_cmp_gt_i32_e64 s26, s27, v46
	v_mov_b32_e32 v43, 0
	v_or_b32_e32 v72, s28, v46
	v_or_b32_e32 v47, 0x100, v46
	v_mov_b32_e32 v1, 0
	v_mov_b32_e32 v2, v46
	s_and_saveexec_b32 s4, s26
	s_cbranch_execz .LBB1_5
; %bb.4:
	v_mov_b32_e32 v73, 0
	v_or_b32_e32 v2, 0x100, v46
	v_lshlrev_b64 v[0:1], 3, v[72:73]
	v_add_co_u32 v0, vcc_lo, s38, v0
	v_add_co_ci_u32_e64 v1, null, s39, v1, vcc_lo
	global_load_dwordx2 v[0:1], v[0:1], off
.LBB1_5:
	s_or_b32 exec_lo, exec_lo, s4
	s_mov_b32 s4, exec_lo
	v_cmpx_gt_i32_e64 s27, v2
	s_cbranch_execz .LBB1_7
; %bb.6:
	v_add_nc_u32_e32 v3, s28, v2
	v_mov_b32_e32 v4, 0
	v_add_nc_u32_e32 v2, 0x100, v2
	v_lshlrev_b64 v[3:4], 3, v[3:4]
	v_add_co_u32 v3, vcc_lo, s38, v3
	v_add_co_ci_u32_e64 v4, null, s39, v4, vcc_lo
	global_load_dwordx2 v[42:43], v[3:4], off
.LBB1_7:
	s_or_b32 exec_lo, exec_lo, s4
	v_mov_b32_e32 v40, 0
	v_mov_b32_e32 v44, 0
	;; [unrolled: 1-line block ×4, first 2 shown]
	s_mov_b32 s4, exec_lo
	v_cmpx_gt_i32_e64 s27, v2
	s_cbranch_execz .LBB1_9
; %bb.8:
	v_add_nc_u32_e32 v3, s28, v2
	v_mov_b32_e32 v4, 0
	v_add_nc_u32_e32 v2, 0x100, v2
	v_lshlrev_b64 v[3:4], 3, v[3:4]
	v_add_co_u32 v3, vcc_lo, s38, v3
	v_add_co_ci_u32_e64 v4, null, s39, v4, vcc_lo
	global_load_dwordx2 v[44:45], v[3:4], off
.LBB1_9:
	s_or_b32 exec_lo, exec_lo, s4
	s_mov_b32 s4, exec_lo
	v_cmpx_gt_i32_e64 s27, v2
	s_cbranch_execz .LBB1_11
; %bb.10:
	v_add_nc_u32_e32 v2, s28, v2
	v_mov_b32_e32 v3, 0
	v_lshlrev_b64 v[2:3], 3, v[2:3]
	v_add_co_u32 v2, vcc_lo, s38, v2
	v_add_co_ci_u32_e64 v3, null, s39, v3, vcc_lo
	global_load_dwordx2 v[40:41], v[2:3], off
.LBB1_11:
	s_or_b32 exec_lo, exec_lo, s4
	v_mov_b32_e32 v56, 0
	v_mov_b32_e32 v57, v56
	;; [unrolled: 1-line block ×8, first 2 shown]
	s_and_saveexec_b32 s29, s26
	s_cbranch_execz .LBB1_13
; %bb.12:
	s_getpc_b64 s[4:5]
	s_add_u32 s4, s4, _ZZZZN2at6native12_GLOBAL__N_121bessel_j1_kernel_cudaERNS_18TensorIteratorBaseEENKUlvE_clEvENKUlvE_clEvENKUldE_clEd@rel32@lo+4
	s_addc_u32 s5, s5, _ZZZZN2at6native12_GLOBAL__N_121bessel_j1_kernel_cudaERNS_18TensorIteratorBaseEENKUlvE_clEvENKUlvE_clEvENKUldE_clEd@rel32@hi+12
	s_swappc_b64 s[30:31], s[4:5]
	v_mov_b32_e32 v7, v56
	v_mov_b32_e32 v2, v56
	;; [unrolled: 1-line block ×14, first 2 shown]
.LBB1_13:
	s_or_b32 exec_lo, exec_lo, s29
	s_mov_b32 s29, exec_lo
	v_cmpx_gt_i32_e64 s27, v47
	s_cbranch_execz .LBB1_15
; %bb.14:
	s_waitcnt vmcnt(0)
	v_mov_b32_e32 v0, v42
	v_mov_b32_e32 v1, v43
	s_getpc_b64 s[4:5]
	s_add_u32 s4, s4, _ZZZZN2at6native12_GLOBAL__N_121bessel_j1_kernel_cudaERNS_18TensorIteratorBaseEENKUlvE_clEvENKUlvE_clEvENKUldE_clEd@rel32@lo+4
	s_addc_u32 s5, s5, _ZZZZN2at6native12_GLOBAL__N_121bessel_j1_kernel_cudaERNS_18TensorIteratorBaseEENKUlvE_clEvENKUlvE_clEvENKUldE_clEd@rel32@hi+12
	s_swappc_b64 s[30:31], s[4:5]
	v_mov_b32_e32 v58, v0
	v_mov_b32_e32 v59, v1
.LBB1_15:
	s_or_b32 exec_lo, exec_lo, s29
	s_waitcnt vmcnt(0)
	v_or_b32_e32 v0, 0x200, v46
	s_mov_b32 s29, exec_lo
	v_cmpx_gt_i32_e64 s27, v0
	s_cbranch_execz .LBB1_17
; %bb.16:
	v_mov_b32_e32 v0, v44
	v_mov_b32_e32 v1, v45
	s_getpc_b64 s[4:5]
	s_add_u32 s4, s4, _ZZZZN2at6native12_GLOBAL__N_121bessel_j1_kernel_cudaERNS_18TensorIteratorBaseEENKUlvE_clEvENKUlvE_clEvENKUldE_clEd@rel32@lo+4
	s_addc_u32 s5, s5, _ZZZZN2at6native12_GLOBAL__N_121bessel_j1_kernel_cudaERNS_18TensorIteratorBaseEENKUlvE_clEvENKUlvE_clEvENKUldE_clEd@rel32@hi+12
	s_swappc_b64 s[30:31], s[4:5]
	v_mov_b32_e32 v60, v0
	v_mov_b32_e32 v61, v1
.LBB1_17:
	s_or_b32 exec_lo, exec_lo, s29
	v_or_b32_e32 v0, 0x300, v46
	s_mov_b32 s29, exec_lo
	v_cmpx_gt_i32_e64 s27, v0
	s_cbranch_execnz .LBB1_24
; %bb.18:
	s_or_b32 exec_lo, exec_lo, s29
	s_and_saveexec_b32 s4, s26
	s_xor_b32 s4, exec_lo, s4
	s_cbranch_execnz .LBB1_25
.LBB1_19:
	s_or_b32 exec_lo, exec_lo, s4
	s_mov_b32 s4, exec_lo
	v_cmpx_gt_i32_e64 s27, v46
	s_cbranch_execnz .LBB1_26
.LBB1_20:
	s_or_b32 exec_lo, exec_lo, s4
	s_mov_b32 s4, exec_lo
	v_cmpx_gt_i32_e64 s27, v46
	s_cbranch_execnz .LBB1_27
.LBB1_21:
	s_or_b32 exec_lo, exec_lo, s4
	s_mov_b32 s4, exec_lo
	v_cmpx_gt_i32_e64 s27, v46
	s_cbranch_execz .LBB1_23
.LBB1_22:
	v_add_nc_u32_e32 v0, s28, v46
	v_mov_b32_e32 v1, 0
	v_lshlrev_b64 v[0:1], 3, v[0:1]
	v_add_co_u32 v0, vcc_lo, s36, v0
	v_add_co_ci_u32_e64 v1, null, s37, v1, vcc_lo
	global_store_dwordx2 v[0:1], v[62:63], off
.LBB1_23:
	s_endpgm
.LBB1_24:
	v_mov_b32_e32 v0, v40
	v_mov_b32_e32 v1, v41
	s_getpc_b64 s[4:5]
	s_add_u32 s4, s4, _ZZZZN2at6native12_GLOBAL__N_121bessel_j1_kernel_cudaERNS_18TensorIteratorBaseEENKUlvE_clEvENKUlvE_clEvENKUldE_clEd@rel32@lo+4
	s_addc_u32 s5, s5, _ZZZZN2at6native12_GLOBAL__N_121bessel_j1_kernel_cudaERNS_18TensorIteratorBaseEENKUlvE_clEvENKUlvE_clEvENKUldE_clEd@rel32@hi+12
	s_swappc_b64 s[30:31], s[4:5]
	v_mov_b32_e32 v62, v0
	v_mov_b32_e32 v63, v1
	s_or_b32 exec_lo, exec_lo, s29
	s_and_saveexec_b32 s4, s26
	s_xor_b32 s4, exec_lo, s4
	s_cbranch_execz .LBB1_19
.LBB1_25:
	v_mov_b32_e32 v73, 0
	v_mov_b32_e32 v46, v47
	v_lshlrev_b64 v[0:1], 3, v[72:73]
	v_add_co_u32 v0, vcc_lo, s36, v0
	v_add_co_ci_u32_e64 v1, null, s37, v1, vcc_lo
	global_store_dwordx2 v[0:1], v[56:57], off
	s_or_b32 exec_lo, exec_lo, s4
	s_mov_b32 s4, exec_lo
	v_cmpx_gt_i32_e64 s27, v46
	s_cbranch_execz .LBB1_20
.LBB1_26:
	v_add_nc_u32_e32 v0, s28, v46
	v_mov_b32_e32 v1, 0
	v_add_nc_u32_e32 v46, 0x100, v46
	v_lshlrev_b64 v[0:1], 3, v[0:1]
	v_add_co_u32 v0, vcc_lo, s36, v0
	v_add_co_ci_u32_e64 v1, null, s37, v1, vcc_lo
	global_store_dwordx2 v[0:1], v[58:59], off
	s_or_b32 exec_lo, exec_lo, s4
	s_mov_b32 s4, exec_lo
	v_cmpx_gt_i32_e64 s27, v46
	s_cbranch_execz .LBB1_21
.LBB1_27:
	v_add_nc_u32_e32 v0, s28, v46
	v_mov_b32_e32 v1, 0
	v_add_nc_u32_e32 v46, 0x100, v46
	v_lshlrev_b64 v[0:1], 3, v[0:1]
	v_add_co_u32 v0, vcc_lo, s36, v0
	v_add_co_ci_u32_e64 v1, null, s37, v1, vcc_lo
	global_store_dwordx2 v[0:1], v[60:61], off
	s_or_b32 exec_lo, exec_lo, s4
	s_mov_b32 s4, exec_lo
	v_cmpx_gt_i32_e64 s27, v46
	s_cbranch_execnz .LBB1_22
	s_branch .LBB1_23
	.section	.rodata,"a",@progbits
	.p2align	6, 0x0
	.amdhsa_kernel _ZN2at6native29vectorized_elementwise_kernelILi16EZZZNS0_12_GLOBAL__N_121bessel_j1_kernel_cudaERNS_18TensorIteratorBaseEENKUlvE_clEvENKUlvE_clEvEUldE_St5arrayIPcLm2EEEEviT0_T1_
		.amdhsa_group_segment_fixed_size 0
		.amdhsa_private_segment_fixed_size 0
		.amdhsa_kernarg_size 24
		.amdhsa_user_sgpr_count 6
		.amdhsa_user_sgpr_private_segment_buffer 1
		.amdhsa_user_sgpr_dispatch_ptr 0
		.amdhsa_user_sgpr_queue_ptr 0
		.amdhsa_user_sgpr_kernarg_segment_ptr 1
		.amdhsa_user_sgpr_dispatch_id 0
		.amdhsa_user_sgpr_flat_scratch_init 0
		.amdhsa_user_sgpr_private_segment_size 0
		.amdhsa_wavefront_size32 1
		.amdhsa_uses_dynamic_stack 0
		.amdhsa_system_sgpr_private_segment_wavefront_offset 0
		.amdhsa_system_sgpr_workgroup_id_x 1
		.amdhsa_system_sgpr_workgroup_id_y 0
		.amdhsa_system_sgpr_workgroup_id_z 0
		.amdhsa_system_sgpr_workgroup_info 0
		.amdhsa_system_vgpr_workitem_id 0
		.amdhsa_next_free_vgpr 84
		.amdhsa_next_free_sgpr 42
		.amdhsa_reserve_vcc 1
		.amdhsa_reserve_flat_scratch 0
		.amdhsa_float_round_mode_32 0
		.amdhsa_float_round_mode_16_64 0
		.amdhsa_float_denorm_mode_32 3
		.amdhsa_float_denorm_mode_16_64 3
		.amdhsa_dx10_clamp 1
		.amdhsa_ieee_mode 1
		.amdhsa_fp16_overflow 0
		.amdhsa_workgroup_processor_mode 1
		.amdhsa_memory_ordered 1
		.amdhsa_forward_progress 1
		.amdhsa_shared_vgpr_count 0
		.amdhsa_exception_fp_ieee_invalid_op 0
		.amdhsa_exception_fp_denorm_src 0
		.amdhsa_exception_fp_ieee_div_zero 0
		.amdhsa_exception_fp_ieee_overflow 0
		.amdhsa_exception_fp_ieee_underflow 0
		.amdhsa_exception_fp_ieee_inexact 0
		.amdhsa_exception_int_div_zero 0
	.end_amdhsa_kernel
	.section	.text._ZN2at6native29vectorized_elementwise_kernelILi16EZZZNS0_12_GLOBAL__N_121bessel_j1_kernel_cudaERNS_18TensorIteratorBaseEENKUlvE_clEvENKUlvE_clEvEUldE_St5arrayIPcLm2EEEEviT0_T1_,"axG",@progbits,_ZN2at6native29vectorized_elementwise_kernelILi16EZZZNS0_12_GLOBAL__N_121bessel_j1_kernel_cudaERNS_18TensorIteratorBaseEENKUlvE_clEvENKUlvE_clEvEUldE_St5arrayIPcLm2EEEEviT0_T1_,comdat
.Lfunc_end1:
	.size	_ZN2at6native29vectorized_elementwise_kernelILi16EZZZNS0_12_GLOBAL__N_121bessel_j1_kernel_cudaERNS_18TensorIteratorBaseEENKUlvE_clEvENKUlvE_clEvEUldE_St5arrayIPcLm2EEEEviT0_T1_, .Lfunc_end1-_ZN2at6native29vectorized_elementwise_kernelILi16EZZZNS0_12_GLOBAL__N_121bessel_j1_kernel_cudaERNS_18TensorIteratorBaseEENKUlvE_clEvENKUlvE_clEvEUldE_St5arrayIPcLm2EEEEviT0_T1_
                                        ; -- End function
	.set _ZN2at6native29vectorized_elementwise_kernelILi16EZZZNS0_12_GLOBAL__N_121bessel_j1_kernel_cudaERNS_18TensorIteratorBaseEENKUlvE_clEvENKUlvE_clEvEUldE_St5arrayIPcLm2EEEEviT0_T1_.num_vgpr, max(74, .L_ZZZZN2at6native12_GLOBAL__N_121bessel_j1_kernel_cudaERNS_18TensorIteratorBaseEENKUlvE_clEvENKUlvE_clEvENKUldE_clEd.num_vgpr)
	.set _ZN2at6native29vectorized_elementwise_kernelILi16EZZZNS0_12_GLOBAL__N_121bessel_j1_kernel_cudaERNS_18TensorIteratorBaseEENKUlvE_clEvENKUlvE_clEvEUldE_St5arrayIPcLm2EEEEviT0_T1_.num_agpr, max(0, .L_ZZZZN2at6native12_GLOBAL__N_121bessel_j1_kernel_cudaERNS_18TensorIteratorBaseEENKUlvE_clEvENKUlvE_clEvENKUldE_clEd.num_agpr)
	.set _ZN2at6native29vectorized_elementwise_kernelILi16EZZZNS0_12_GLOBAL__N_121bessel_j1_kernel_cudaERNS_18TensorIteratorBaseEENKUlvE_clEvENKUlvE_clEvEUldE_St5arrayIPcLm2EEEEviT0_T1_.numbered_sgpr, max(42, .L_ZZZZN2at6native12_GLOBAL__N_121bessel_j1_kernel_cudaERNS_18TensorIteratorBaseEENKUlvE_clEvENKUlvE_clEvENKUldE_clEd.numbered_sgpr)
	.set _ZN2at6native29vectorized_elementwise_kernelILi16EZZZNS0_12_GLOBAL__N_121bessel_j1_kernel_cudaERNS_18TensorIteratorBaseEENKUlvE_clEvENKUlvE_clEvEUldE_St5arrayIPcLm2EEEEviT0_T1_.num_named_barrier, max(0, .L_ZZZZN2at6native12_GLOBAL__N_121bessel_j1_kernel_cudaERNS_18TensorIteratorBaseEENKUlvE_clEvENKUlvE_clEvENKUldE_clEd.num_named_barrier)
	.set _ZN2at6native29vectorized_elementwise_kernelILi16EZZZNS0_12_GLOBAL__N_121bessel_j1_kernel_cudaERNS_18TensorIteratorBaseEENKUlvE_clEvENKUlvE_clEvEUldE_St5arrayIPcLm2EEEEviT0_T1_.private_seg_size, 0+max(.L_ZZZZN2at6native12_GLOBAL__N_121bessel_j1_kernel_cudaERNS_18TensorIteratorBaseEENKUlvE_clEvENKUlvE_clEvENKUldE_clEd.private_seg_size)
	.set _ZN2at6native29vectorized_elementwise_kernelILi16EZZZNS0_12_GLOBAL__N_121bessel_j1_kernel_cudaERNS_18TensorIteratorBaseEENKUlvE_clEvENKUlvE_clEvEUldE_St5arrayIPcLm2EEEEviT0_T1_.uses_vcc, or(1, .L_ZZZZN2at6native12_GLOBAL__N_121bessel_j1_kernel_cudaERNS_18TensorIteratorBaseEENKUlvE_clEvENKUlvE_clEvENKUldE_clEd.uses_vcc)
	.set _ZN2at6native29vectorized_elementwise_kernelILi16EZZZNS0_12_GLOBAL__N_121bessel_j1_kernel_cudaERNS_18TensorIteratorBaseEENKUlvE_clEvENKUlvE_clEvEUldE_St5arrayIPcLm2EEEEviT0_T1_.uses_flat_scratch, or(0, .L_ZZZZN2at6native12_GLOBAL__N_121bessel_j1_kernel_cudaERNS_18TensorIteratorBaseEENKUlvE_clEvENKUlvE_clEvENKUldE_clEd.uses_flat_scratch)
	.set _ZN2at6native29vectorized_elementwise_kernelILi16EZZZNS0_12_GLOBAL__N_121bessel_j1_kernel_cudaERNS_18TensorIteratorBaseEENKUlvE_clEvENKUlvE_clEvEUldE_St5arrayIPcLm2EEEEviT0_T1_.has_dyn_sized_stack, or(0, .L_ZZZZN2at6native12_GLOBAL__N_121bessel_j1_kernel_cudaERNS_18TensorIteratorBaseEENKUlvE_clEvENKUlvE_clEvENKUldE_clEd.has_dyn_sized_stack)
	.set _ZN2at6native29vectorized_elementwise_kernelILi16EZZZNS0_12_GLOBAL__N_121bessel_j1_kernel_cudaERNS_18TensorIteratorBaseEENKUlvE_clEvENKUlvE_clEvEUldE_St5arrayIPcLm2EEEEviT0_T1_.has_recursion, or(0, .L_ZZZZN2at6native12_GLOBAL__N_121bessel_j1_kernel_cudaERNS_18TensorIteratorBaseEENKUlvE_clEvENKUlvE_clEvENKUldE_clEd.has_recursion)
	.set _ZN2at6native29vectorized_elementwise_kernelILi16EZZZNS0_12_GLOBAL__N_121bessel_j1_kernel_cudaERNS_18TensorIteratorBaseEENKUlvE_clEvENKUlvE_clEvEUldE_St5arrayIPcLm2EEEEviT0_T1_.has_indirect_call, or(0, .L_ZZZZN2at6native12_GLOBAL__N_121bessel_j1_kernel_cudaERNS_18TensorIteratorBaseEENKUlvE_clEvENKUlvE_clEvENKUldE_clEd.has_indirect_call)
	.section	.AMDGPU.csdata,"",@progbits
; Kernel info:
; codeLenInByte = 1208
; TotalNumSgprs: 44
; NumVgprs: 84
; ScratchSize: 0
; MemoryBound: 0
; FloatMode: 240
; IeeeMode: 1
; LDSByteSize: 0 bytes/workgroup (compile time only)
; SGPRBlocks: 0
; VGPRBlocks: 10
; NumSGPRsForWavesPerEU: 44
; NumVGPRsForWavesPerEU: 84
; Occupancy: 10
; WaveLimiterHint : 0
; COMPUTE_PGM_RSRC2:SCRATCH_EN: 0
; COMPUTE_PGM_RSRC2:USER_SGPR: 6
; COMPUTE_PGM_RSRC2:TRAP_HANDLER: 0
; COMPUTE_PGM_RSRC2:TGID_X_EN: 1
; COMPUTE_PGM_RSRC2:TGID_Y_EN: 0
; COMPUTE_PGM_RSRC2:TGID_Z_EN: 0
; COMPUTE_PGM_RSRC2:TIDIG_COMP_CNT: 0
	.section	.text._ZN2at6native29vectorized_elementwise_kernelILi8EZZZNS0_12_GLOBAL__N_121bessel_j1_kernel_cudaERNS_18TensorIteratorBaseEENKUlvE_clEvENKUlvE_clEvEUldE_St5arrayIPcLm2EEEEviT0_T1_,"axG",@progbits,_ZN2at6native29vectorized_elementwise_kernelILi8EZZZNS0_12_GLOBAL__N_121bessel_j1_kernel_cudaERNS_18TensorIteratorBaseEENKUlvE_clEvENKUlvE_clEvEUldE_St5arrayIPcLm2EEEEviT0_T1_,comdat
	.globl	_ZN2at6native29vectorized_elementwise_kernelILi8EZZZNS0_12_GLOBAL__N_121bessel_j1_kernel_cudaERNS_18TensorIteratorBaseEENKUlvE_clEvENKUlvE_clEvEUldE_St5arrayIPcLm2EEEEviT0_T1_ ; -- Begin function _ZN2at6native29vectorized_elementwise_kernelILi8EZZZNS0_12_GLOBAL__N_121bessel_j1_kernel_cudaERNS_18TensorIteratorBaseEENKUlvE_clEvENKUlvE_clEvEUldE_St5arrayIPcLm2EEEEviT0_T1_
	.p2align	8
	.type	_ZN2at6native29vectorized_elementwise_kernelILi8EZZZNS0_12_GLOBAL__N_121bessel_j1_kernel_cudaERNS_18TensorIteratorBaseEENKUlvE_clEvENKUlvE_clEvEUldE_St5arrayIPcLm2EEEEviT0_T1_,@function
_ZN2at6native29vectorized_elementwise_kernelILi8EZZZNS0_12_GLOBAL__N_121bessel_j1_kernel_cudaERNS_18TensorIteratorBaseEENKUlvE_clEvENKUlvE_clEvEUldE_St5arrayIPcLm2EEEEviT0_T1_: ; @_ZN2at6native29vectorized_elementwise_kernelILi8EZZZNS0_12_GLOBAL__N_121bessel_j1_kernel_cudaERNS_18TensorIteratorBaseEENKUlvE_clEvENKUlvE_clEvEUldE_St5arrayIPcLm2EEEEviT0_T1_
; %bb.0:
	s_add_u32 s0, s0, s7
	s_clause 0x1
	s_load_dword s7, s[4:5], 0x0
	s_load_dwordx4 s[36:39], s[4:5], 0x8
	s_addc_u32 s1, s1, 0
	s_lshl_b32 s28, s6, 10
	v_mov_b32_e32 v46, v0
	s_mov_b32 s4, -1
	s_mov_b32 s32, 0
	s_waitcnt lgkmcnt(0)
	s_sub_i32 s27, s7, s28
	s_cmpk_gt_i32 s27, 0x3ff
	s_cbranch_scc0 .LBB2_2
; %bb.1:
	s_ashr_i32 s29, s28, 31
	v_lshlrev_b32_e32 v44, 5, v46
	s_lshl_b64 s[34:35], s[28:29], 3
	s_add_u32 s4, s38, s34
	s_addc_u32 s5, s39, s35
	s_getpc_b64 s[40:41]
	s_add_u32 s40, s40, _ZZZZN2at6native12_GLOBAL__N_121bessel_j1_kernel_cudaERNS_18TensorIteratorBaseEENKUlvE_clEvENKUlvE_clEvENKUldE_clEd@rel32@lo+4
	s_addc_u32 s41, s41, _ZZZZN2at6native12_GLOBAL__N_121bessel_j1_kernel_cudaERNS_18TensorIteratorBaseEENKUlvE_clEvENKUlvE_clEvENKUldE_clEd@rel32@hi+12
	s_clause 0x1
	global_load_dwordx4 v[40:43], v44, s[4:5]
	global_load_dwordx4 v[56:59], v44, s[4:5] offset:16
	s_waitcnt vmcnt(1)
	v_mov_b32_e32 v0, v40
	v_mov_b32_e32 v1, v41
	s_swappc_b64 s[30:31], s[40:41]
	v_mov_b32_e32 v40, v0
	v_mov_b32_e32 v41, v1
	v_mov_b32_e32 v0, v42
	v_mov_b32_e32 v1, v43
	s_swappc_b64 s[30:31], s[40:41]
	v_mov_b32_e32 v42, v0
	v_mov_b32_e32 v43, v1
	;; [unrolled: 5-line block ×4, first 2 shown]
	s_add_u32 s6, s36, s34
	s_addc_u32 s7, s37, s35
	s_mov_b32 s4, 0
	global_store_dwordx4 v44, v[40:43], s[6:7]
	global_store_dwordx4 v44, v[56:59], s[6:7] offset:16
.LBB2_2:
	s_andn2_b32 vcc_lo, exec_lo, s4
	s_cbranch_vccnz .LBB2_23
; %bb.3:
	v_mov_b32_e32 v42, 0
	v_mov_b32_e32 v0, 0
	v_cmp_gt_i32_e64 s26, s27, v46
	v_mov_b32_e32 v43, 0
	v_or_b32_e32 v72, s28, v46
	v_or_b32_e32 v47, 0x100, v46
	v_mov_b32_e32 v1, 0
	v_mov_b32_e32 v2, v46
	s_and_saveexec_b32 s4, s26
	s_cbranch_execz .LBB2_5
; %bb.4:
	v_mov_b32_e32 v73, 0
	v_or_b32_e32 v2, 0x100, v46
	v_lshlrev_b64 v[0:1], 3, v[72:73]
	v_add_co_u32 v0, vcc_lo, s38, v0
	v_add_co_ci_u32_e64 v1, null, s39, v1, vcc_lo
	global_load_dwordx2 v[0:1], v[0:1], off
.LBB2_5:
	s_or_b32 exec_lo, exec_lo, s4
	s_mov_b32 s4, exec_lo
	v_cmpx_gt_i32_e64 s27, v2
	s_cbranch_execz .LBB2_7
; %bb.6:
	v_add_nc_u32_e32 v3, s28, v2
	v_mov_b32_e32 v4, 0
	v_add_nc_u32_e32 v2, 0x100, v2
	v_lshlrev_b64 v[3:4], 3, v[3:4]
	v_add_co_u32 v3, vcc_lo, s38, v3
	v_add_co_ci_u32_e64 v4, null, s39, v4, vcc_lo
	global_load_dwordx2 v[42:43], v[3:4], off
.LBB2_7:
	s_or_b32 exec_lo, exec_lo, s4
	v_mov_b32_e32 v40, 0
	v_mov_b32_e32 v44, 0
	v_mov_b32_e32 v41, 0
	v_mov_b32_e32 v45, 0
	s_mov_b32 s4, exec_lo
	v_cmpx_gt_i32_e64 s27, v2
	s_cbranch_execz .LBB2_9
; %bb.8:
	v_add_nc_u32_e32 v3, s28, v2
	v_mov_b32_e32 v4, 0
	v_add_nc_u32_e32 v2, 0x100, v2
	v_lshlrev_b64 v[3:4], 3, v[3:4]
	v_add_co_u32 v3, vcc_lo, s38, v3
	v_add_co_ci_u32_e64 v4, null, s39, v4, vcc_lo
	global_load_dwordx2 v[44:45], v[3:4], off
.LBB2_9:
	s_or_b32 exec_lo, exec_lo, s4
	s_mov_b32 s4, exec_lo
	v_cmpx_gt_i32_e64 s27, v2
	s_cbranch_execz .LBB2_11
; %bb.10:
	v_add_nc_u32_e32 v2, s28, v2
	v_mov_b32_e32 v3, 0
	v_lshlrev_b64 v[2:3], 3, v[2:3]
	v_add_co_u32 v2, vcc_lo, s38, v2
	v_add_co_ci_u32_e64 v3, null, s39, v3, vcc_lo
	global_load_dwordx2 v[40:41], v[2:3], off
.LBB2_11:
	s_or_b32 exec_lo, exec_lo, s4
	v_mov_b32_e32 v56, 0
	v_mov_b32_e32 v57, v56
	;; [unrolled: 1-line block ×8, first 2 shown]
	s_and_saveexec_b32 s29, s26
	s_cbranch_execz .LBB2_13
; %bb.12:
	s_getpc_b64 s[4:5]
	s_add_u32 s4, s4, _ZZZZN2at6native12_GLOBAL__N_121bessel_j1_kernel_cudaERNS_18TensorIteratorBaseEENKUlvE_clEvENKUlvE_clEvENKUldE_clEd@rel32@lo+4
	s_addc_u32 s5, s5, _ZZZZN2at6native12_GLOBAL__N_121bessel_j1_kernel_cudaERNS_18TensorIteratorBaseEENKUlvE_clEvENKUlvE_clEvENKUldE_clEd@rel32@hi+12
	s_swappc_b64 s[30:31], s[4:5]
	v_mov_b32_e32 v7, v56
	v_mov_b32_e32 v2, v56
	;; [unrolled: 1-line block ×14, first 2 shown]
.LBB2_13:
	s_or_b32 exec_lo, exec_lo, s29
	s_mov_b32 s29, exec_lo
	v_cmpx_gt_i32_e64 s27, v47
	s_cbranch_execz .LBB2_15
; %bb.14:
	s_waitcnt vmcnt(0)
	v_mov_b32_e32 v0, v42
	v_mov_b32_e32 v1, v43
	s_getpc_b64 s[4:5]
	s_add_u32 s4, s4, _ZZZZN2at6native12_GLOBAL__N_121bessel_j1_kernel_cudaERNS_18TensorIteratorBaseEENKUlvE_clEvENKUlvE_clEvENKUldE_clEd@rel32@lo+4
	s_addc_u32 s5, s5, _ZZZZN2at6native12_GLOBAL__N_121bessel_j1_kernel_cudaERNS_18TensorIteratorBaseEENKUlvE_clEvENKUlvE_clEvENKUldE_clEd@rel32@hi+12
	s_swappc_b64 s[30:31], s[4:5]
	v_mov_b32_e32 v58, v0
	v_mov_b32_e32 v59, v1
.LBB2_15:
	s_or_b32 exec_lo, exec_lo, s29
	s_waitcnt vmcnt(0)
	v_or_b32_e32 v0, 0x200, v46
	s_mov_b32 s29, exec_lo
	v_cmpx_gt_i32_e64 s27, v0
	s_cbranch_execz .LBB2_17
; %bb.16:
	v_mov_b32_e32 v0, v44
	v_mov_b32_e32 v1, v45
	s_getpc_b64 s[4:5]
	s_add_u32 s4, s4, _ZZZZN2at6native12_GLOBAL__N_121bessel_j1_kernel_cudaERNS_18TensorIteratorBaseEENKUlvE_clEvENKUlvE_clEvENKUldE_clEd@rel32@lo+4
	s_addc_u32 s5, s5, _ZZZZN2at6native12_GLOBAL__N_121bessel_j1_kernel_cudaERNS_18TensorIteratorBaseEENKUlvE_clEvENKUlvE_clEvENKUldE_clEd@rel32@hi+12
	s_swappc_b64 s[30:31], s[4:5]
	v_mov_b32_e32 v60, v0
	v_mov_b32_e32 v61, v1
.LBB2_17:
	s_or_b32 exec_lo, exec_lo, s29
	v_or_b32_e32 v0, 0x300, v46
	s_mov_b32 s29, exec_lo
	v_cmpx_gt_i32_e64 s27, v0
	s_cbranch_execnz .LBB2_24
; %bb.18:
	s_or_b32 exec_lo, exec_lo, s29
	s_and_saveexec_b32 s4, s26
	s_xor_b32 s4, exec_lo, s4
	s_cbranch_execnz .LBB2_25
.LBB2_19:
	s_or_b32 exec_lo, exec_lo, s4
	s_mov_b32 s4, exec_lo
	v_cmpx_gt_i32_e64 s27, v46
	s_cbranch_execnz .LBB2_26
.LBB2_20:
	s_or_b32 exec_lo, exec_lo, s4
	s_mov_b32 s4, exec_lo
	v_cmpx_gt_i32_e64 s27, v46
	s_cbranch_execnz .LBB2_27
.LBB2_21:
	s_or_b32 exec_lo, exec_lo, s4
	s_mov_b32 s4, exec_lo
	v_cmpx_gt_i32_e64 s27, v46
	s_cbranch_execz .LBB2_23
.LBB2_22:
	v_add_nc_u32_e32 v0, s28, v46
	v_mov_b32_e32 v1, 0
	v_lshlrev_b64 v[0:1], 3, v[0:1]
	v_add_co_u32 v0, vcc_lo, s36, v0
	v_add_co_ci_u32_e64 v1, null, s37, v1, vcc_lo
	global_store_dwordx2 v[0:1], v[62:63], off
.LBB2_23:
	s_endpgm
.LBB2_24:
	v_mov_b32_e32 v0, v40
	v_mov_b32_e32 v1, v41
	s_getpc_b64 s[4:5]
	s_add_u32 s4, s4, _ZZZZN2at6native12_GLOBAL__N_121bessel_j1_kernel_cudaERNS_18TensorIteratorBaseEENKUlvE_clEvENKUlvE_clEvENKUldE_clEd@rel32@lo+4
	s_addc_u32 s5, s5, _ZZZZN2at6native12_GLOBAL__N_121bessel_j1_kernel_cudaERNS_18TensorIteratorBaseEENKUlvE_clEvENKUlvE_clEvENKUldE_clEd@rel32@hi+12
	s_swappc_b64 s[30:31], s[4:5]
	v_mov_b32_e32 v62, v0
	v_mov_b32_e32 v63, v1
	s_or_b32 exec_lo, exec_lo, s29
	s_and_saveexec_b32 s4, s26
	s_xor_b32 s4, exec_lo, s4
	s_cbranch_execz .LBB2_19
.LBB2_25:
	v_mov_b32_e32 v73, 0
	v_mov_b32_e32 v46, v47
	v_lshlrev_b64 v[0:1], 3, v[72:73]
	v_add_co_u32 v0, vcc_lo, s36, v0
	v_add_co_ci_u32_e64 v1, null, s37, v1, vcc_lo
	global_store_dwordx2 v[0:1], v[56:57], off
	s_or_b32 exec_lo, exec_lo, s4
	s_mov_b32 s4, exec_lo
	v_cmpx_gt_i32_e64 s27, v46
	s_cbranch_execz .LBB2_20
.LBB2_26:
	v_add_nc_u32_e32 v0, s28, v46
	v_mov_b32_e32 v1, 0
	v_add_nc_u32_e32 v46, 0x100, v46
	v_lshlrev_b64 v[0:1], 3, v[0:1]
	v_add_co_u32 v0, vcc_lo, s36, v0
	v_add_co_ci_u32_e64 v1, null, s37, v1, vcc_lo
	global_store_dwordx2 v[0:1], v[58:59], off
	s_or_b32 exec_lo, exec_lo, s4
	s_mov_b32 s4, exec_lo
	v_cmpx_gt_i32_e64 s27, v46
	s_cbranch_execz .LBB2_21
.LBB2_27:
	v_add_nc_u32_e32 v0, s28, v46
	v_mov_b32_e32 v1, 0
	v_add_nc_u32_e32 v46, 0x100, v46
	v_lshlrev_b64 v[0:1], 3, v[0:1]
	v_add_co_u32 v0, vcc_lo, s36, v0
	v_add_co_ci_u32_e64 v1, null, s37, v1, vcc_lo
	global_store_dwordx2 v[0:1], v[60:61], off
	s_or_b32 exec_lo, exec_lo, s4
	s_mov_b32 s4, exec_lo
	v_cmpx_gt_i32_e64 s27, v46
	s_cbranch_execnz .LBB2_22
	s_branch .LBB2_23
	.section	.rodata,"a",@progbits
	.p2align	6, 0x0
	.amdhsa_kernel _ZN2at6native29vectorized_elementwise_kernelILi8EZZZNS0_12_GLOBAL__N_121bessel_j1_kernel_cudaERNS_18TensorIteratorBaseEENKUlvE_clEvENKUlvE_clEvEUldE_St5arrayIPcLm2EEEEviT0_T1_
		.amdhsa_group_segment_fixed_size 0
		.amdhsa_private_segment_fixed_size 0
		.amdhsa_kernarg_size 24
		.amdhsa_user_sgpr_count 6
		.amdhsa_user_sgpr_private_segment_buffer 1
		.amdhsa_user_sgpr_dispatch_ptr 0
		.amdhsa_user_sgpr_queue_ptr 0
		.amdhsa_user_sgpr_kernarg_segment_ptr 1
		.amdhsa_user_sgpr_dispatch_id 0
		.amdhsa_user_sgpr_flat_scratch_init 0
		.amdhsa_user_sgpr_private_segment_size 0
		.amdhsa_wavefront_size32 1
		.amdhsa_uses_dynamic_stack 0
		.amdhsa_system_sgpr_private_segment_wavefront_offset 0
		.amdhsa_system_sgpr_workgroup_id_x 1
		.amdhsa_system_sgpr_workgroup_id_y 0
		.amdhsa_system_sgpr_workgroup_id_z 0
		.amdhsa_system_sgpr_workgroup_info 0
		.amdhsa_system_vgpr_workitem_id 0
		.amdhsa_next_free_vgpr 84
		.amdhsa_next_free_sgpr 42
		.amdhsa_reserve_vcc 1
		.amdhsa_reserve_flat_scratch 0
		.amdhsa_float_round_mode_32 0
		.amdhsa_float_round_mode_16_64 0
		.amdhsa_float_denorm_mode_32 3
		.amdhsa_float_denorm_mode_16_64 3
		.amdhsa_dx10_clamp 1
		.amdhsa_ieee_mode 1
		.amdhsa_fp16_overflow 0
		.amdhsa_workgroup_processor_mode 1
		.amdhsa_memory_ordered 1
		.amdhsa_forward_progress 1
		.amdhsa_shared_vgpr_count 0
		.amdhsa_exception_fp_ieee_invalid_op 0
		.amdhsa_exception_fp_denorm_src 0
		.amdhsa_exception_fp_ieee_div_zero 0
		.amdhsa_exception_fp_ieee_overflow 0
		.amdhsa_exception_fp_ieee_underflow 0
		.amdhsa_exception_fp_ieee_inexact 0
		.amdhsa_exception_int_div_zero 0
	.end_amdhsa_kernel
	.section	.text._ZN2at6native29vectorized_elementwise_kernelILi8EZZZNS0_12_GLOBAL__N_121bessel_j1_kernel_cudaERNS_18TensorIteratorBaseEENKUlvE_clEvENKUlvE_clEvEUldE_St5arrayIPcLm2EEEEviT0_T1_,"axG",@progbits,_ZN2at6native29vectorized_elementwise_kernelILi8EZZZNS0_12_GLOBAL__N_121bessel_j1_kernel_cudaERNS_18TensorIteratorBaseEENKUlvE_clEvENKUlvE_clEvEUldE_St5arrayIPcLm2EEEEviT0_T1_,comdat
.Lfunc_end2:
	.size	_ZN2at6native29vectorized_elementwise_kernelILi8EZZZNS0_12_GLOBAL__N_121bessel_j1_kernel_cudaERNS_18TensorIteratorBaseEENKUlvE_clEvENKUlvE_clEvEUldE_St5arrayIPcLm2EEEEviT0_T1_, .Lfunc_end2-_ZN2at6native29vectorized_elementwise_kernelILi8EZZZNS0_12_GLOBAL__N_121bessel_j1_kernel_cudaERNS_18TensorIteratorBaseEENKUlvE_clEvENKUlvE_clEvEUldE_St5arrayIPcLm2EEEEviT0_T1_
                                        ; -- End function
	.set _ZN2at6native29vectorized_elementwise_kernelILi8EZZZNS0_12_GLOBAL__N_121bessel_j1_kernel_cudaERNS_18TensorIteratorBaseEENKUlvE_clEvENKUlvE_clEvEUldE_St5arrayIPcLm2EEEEviT0_T1_.num_vgpr, max(74, .L_ZZZZN2at6native12_GLOBAL__N_121bessel_j1_kernel_cudaERNS_18TensorIteratorBaseEENKUlvE_clEvENKUlvE_clEvENKUldE_clEd.num_vgpr)
	.set _ZN2at6native29vectorized_elementwise_kernelILi8EZZZNS0_12_GLOBAL__N_121bessel_j1_kernel_cudaERNS_18TensorIteratorBaseEENKUlvE_clEvENKUlvE_clEvEUldE_St5arrayIPcLm2EEEEviT0_T1_.num_agpr, max(0, .L_ZZZZN2at6native12_GLOBAL__N_121bessel_j1_kernel_cudaERNS_18TensorIteratorBaseEENKUlvE_clEvENKUlvE_clEvENKUldE_clEd.num_agpr)
	.set _ZN2at6native29vectorized_elementwise_kernelILi8EZZZNS0_12_GLOBAL__N_121bessel_j1_kernel_cudaERNS_18TensorIteratorBaseEENKUlvE_clEvENKUlvE_clEvEUldE_St5arrayIPcLm2EEEEviT0_T1_.numbered_sgpr, max(42, .L_ZZZZN2at6native12_GLOBAL__N_121bessel_j1_kernel_cudaERNS_18TensorIteratorBaseEENKUlvE_clEvENKUlvE_clEvENKUldE_clEd.numbered_sgpr)
	.set _ZN2at6native29vectorized_elementwise_kernelILi8EZZZNS0_12_GLOBAL__N_121bessel_j1_kernel_cudaERNS_18TensorIteratorBaseEENKUlvE_clEvENKUlvE_clEvEUldE_St5arrayIPcLm2EEEEviT0_T1_.num_named_barrier, max(0, .L_ZZZZN2at6native12_GLOBAL__N_121bessel_j1_kernel_cudaERNS_18TensorIteratorBaseEENKUlvE_clEvENKUlvE_clEvENKUldE_clEd.num_named_barrier)
	.set _ZN2at6native29vectorized_elementwise_kernelILi8EZZZNS0_12_GLOBAL__N_121bessel_j1_kernel_cudaERNS_18TensorIteratorBaseEENKUlvE_clEvENKUlvE_clEvEUldE_St5arrayIPcLm2EEEEviT0_T1_.private_seg_size, 0+max(.L_ZZZZN2at6native12_GLOBAL__N_121bessel_j1_kernel_cudaERNS_18TensorIteratorBaseEENKUlvE_clEvENKUlvE_clEvENKUldE_clEd.private_seg_size)
	.set _ZN2at6native29vectorized_elementwise_kernelILi8EZZZNS0_12_GLOBAL__N_121bessel_j1_kernel_cudaERNS_18TensorIteratorBaseEENKUlvE_clEvENKUlvE_clEvEUldE_St5arrayIPcLm2EEEEviT0_T1_.uses_vcc, or(1, .L_ZZZZN2at6native12_GLOBAL__N_121bessel_j1_kernel_cudaERNS_18TensorIteratorBaseEENKUlvE_clEvENKUlvE_clEvENKUldE_clEd.uses_vcc)
	.set _ZN2at6native29vectorized_elementwise_kernelILi8EZZZNS0_12_GLOBAL__N_121bessel_j1_kernel_cudaERNS_18TensorIteratorBaseEENKUlvE_clEvENKUlvE_clEvEUldE_St5arrayIPcLm2EEEEviT0_T1_.uses_flat_scratch, or(0, .L_ZZZZN2at6native12_GLOBAL__N_121bessel_j1_kernel_cudaERNS_18TensorIteratorBaseEENKUlvE_clEvENKUlvE_clEvENKUldE_clEd.uses_flat_scratch)
	.set _ZN2at6native29vectorized_elementwise_kernelILi8EZZZNS0_12_GLOBAL__N_121bessel_j1_kernel_cudaERNS_18TensorIteratorBaseEENKUlvE_clEvENKUlvE_clEvEUldE_St5arrayIPcLm2EEEEviT0_T1_.has_dyn_sized_stack, or(0, .L_ZZZZN2at6native12_GLOBAL__N_121bessel_j1_kernel_cudaERNS_18TensorIteratorBaseEENKUlvE_clEvENKUlvE_clEvENKUldE_clEd.has_dyn_sized_stack)
	.set _ZN2at6native29vectorized_elementwise_kernelILi8EZZZNS0_12_GLOBAL__N_121bessel_j1_kernel_cudaERNS_18TensorIteratorBaseEENKUlvE_clEvENKUlvE_clEvEUldE_St5arrayIPcLm2EEEEviT0_T1_.has_recursion, or(0, .L_ZZZZN2at6native12_GLOBAL__N_121bessel_j1_kernel_cudaERNS_18TensorIteratorBaseEENKUlvE_clEvENKUlvE_clEvENKUldE_clEd.has_recursion)
	.set _ZN2at6native29vectorized_elementwise_kernelILi8EZZZNS0_12_GLOBAL__N_121bessel_j1_kernel_cudaERNS_18TensorIteratorBaseEENKUlvE_clEvENKUlvE_clEvEUldE_St5arrayIPcLm2EEEEviT0_T1_.has_indirect_call, or(0, .L_ZZZZN2at6native12_GLOBAL__N_121bessel_j1_kernel_cudaERNS_18TensorIteratorBaseEENKUlvE_clEvENKUlvE_clEvENKUldE_clEd.has_indirect_call)
	.section	.AMDGPU.csdata,"",@progbits
; Kernel info:
; codeLenInByte = 1208
; TotalNumSgprs: 44
; NumVgprs: 84
; ScratchSize: 0
; MemoryBound: 0
; FloatMode: 240
; IeeeMode: 1
; LDSByteSize: 0 bytes/workgroup (compile time only)
; SGPRBlocks: 0
; VGPRBlocks: 10
; NumSGPRsForWavesPerEU: 44
; NumVGPRsForWavesPerEU: 84
; Occupancy: 10
; WaveLimiterHint : 0
; COMPUTE_PGM_RSRC2:SCRATCH_EN: 0
; COMPUTE_PGM_RSRC2:USER_SGPR: 6
; COMPUTE_PGM_RSRC2:TRAP_HANDLER: 0
; COMPUTE_PGM_RSRC2:TGID_X_EN: 1
; COMPUTE_PGM_RSRC2:TGID_Y_EN: 0
; COMPUTE_PGM_RSRC2:TGID_Z_EN: 0
; COMPUTE_PGM_RSRC2:TIDIG_COMP_CNT: 0
	.section	.text._ZN2at6native29vectorized_elementwise_kernelILi4EZZZNS0_12_GLOBAL__N_121bessel_j1_kernel_cudaERNS_18TensorIteratorBaseEENKUlvE_clEvENKUlvE_clEvEUldE_St5arrayIPcLm2EEEEviT0_T1_,"axG",@progbits,_ZN2at6native29vectorized_elementwise_kernelILi4EZZZNS0_12_GLOBAL__N_121bessel_j1_kernel_cudaERNS_18TensorIteratorBaseEENKUlvE_clEvENKUlvE_clEvEUldE_St5arrayIPcLm2EEEEviT0_T1_,comdat
	.globl	_ZN2at6native29vectorized_elementwise_kernelILi4EZZZNS0_12_GLOBAL__N_121bessel_j1_kernel_cudaERNS_18TensorIteratorBaseEENKUlvE_clEvENKUlvE_clEvEUldE_St5arrayIPcLm2EEEEviT0_T1_ ; -- Begin function _ZN2at6native29vectorized_elementwise_kernelILi4EZZZNS0_12_GLOBAL__N_121bessel_j1_kernel_cudaERNS_18TensorIteratorBaseEENKUlvE_clEvENKUlvE_clEvEUldE_St5arrayIPcLm2EEEEviT0_T1_
	.p2align	8
	.type	_ZN2at6native29vectorized_elementwise_kernelILi4EZZZNS0_12_GLOBAL__N_121bessel_j1_kernel_cudaERNS_18TensorIteratorBaseEENKUlvE_clEvENKUlvE_clEvEUldE_St5arrayIPcLm2EEEEviT0_T1_,@function
_ZN2at6native29vectorized_elementwise_kernelILi4EZZZNS0_12_GLOBAL__N_121bessel_j1_kernel_cudaERNS_18TensorIteratorBaseEENKUlvE_clEvENKUlvE_clEvEUldE_St5arrayIPcLm2EEEEviT0_T1_: ; @_ZN2at6native29vectorized_elementwise_kernelILi4EZZZNS0_12_GLOBAL__N_121bessel_j1_kernel_cudaERNS_18TensorIteratorBaseEENKUlvE_clEvENKUlvE_clEvEUldE_St5arrayIPcLm2EEEEviT0_T1_
; %bb.0:
	s_add_u32 s0, s0, s7
	s_clause 0x1
	s_load_dword s7, s[4:5], 0x0
	s_load_dwordx4 s[36:39], s[4:5], 0x8
	s_addc_u32 s1, s1, 0
	s_lshl_b32 s28, s6, 10
	v_mov_b32_e32 v46, v0
	s_mov_b32 s4, -1
	s_mov_b32 s32, 0
	s_waitcnt lgkmcnt(0)
	s_sub_i32 s27, s7, s28
	s_cmpk_gt_i32 s27, 0x3ff
	s_cbranch_scc0 .LBB3_2
; %bb.1:
	s_ashr_i32 s29, s28, 31
	v_lshlrev_b32_e32 v44, 5, v46
	s_lshl_b64 s[34:35], s[28:29], 3
	s_add_u32 s4, s38, s34
	s_addc_u32 s5, s39, s35
	s_getpc_b64 s[40:41]
	s_add_u32 s40, s40, _ZZZZN2at6native12_GLOBAL__N_121bessel_j1_kernel_cudaERNS_18TensorIteratorBaseEENKUlvE_clEvENKUlvE_clEvENKUldE_clEd@rel32@lo+4
	s_addc_u32 s41, s41, _ZZZZN2at6native12_GLOBAL__N_121bessel_j1_kernel_cudaERNS_18TensorIteratorBaseEENKUlvE_clEvENKUlvE_clEvENKUldE_clEd@rel32@hi+12
	s_clause 0x1
	global_load_dwordx4 v[40:43], v44, s[4:5]
	global_load_dwordx4 v[56:59], v44, s[4:5] offset:16
	s_waitcnt vmcnt(1)
	v_mov_b32_e32 v0, v40
	v_mov_b32_e32 v1, v41
	s_swappc_b64 s[30:31], s[40:41]
	v_mov_b32_e32 v40, v0
	v_mov_b32_e32 v41, v1
	v_mov_b32_e32 v0, v42
	v_mov_b32_e32 v1, v43
	s_swappc_b64 s[30:31], s[40:41]
	v_mov_b32_e32 v42, v0
	v_mov_b32_e32 v43, v1
	;; [unrolled: 5-line block ×4, first 2 shown]
	s_add_u32 s6, s36, s34
	s_addc_u32 s7, s37, s35
	s_mov_b32 s4, 0
	global_store_dwordx4 v44, v[40:43], s[6:7]
	global_store_dwordx4 v44, v[56:59], s[6:7] offset:16
.LBB3_2:
	s_andn2_b32 vcc_lo, exec_lo, s4
	s_cbranch_vccnz .LBB3_23
; %bb.3:
	v_mov_b32_e32 v42, 0
	v_mov_b32_e32 v0, 0
	v_cmp_gt_i32_e64 s26, s27, v46
	v_mov_b32_e32 v43, 0
	v_or_b32_e32 v72, s28, v46
	v_or_b32_e32 v47, 0x100, v46
	v_mov_b32_e32 v1, 0
	v_mov_b32_e32 v2, v46
	s_and_saveexec_b32 s4, s26
	s_cbranch_execz .LBB3_5
; %bb.4:
	v_mov_b32_e32 v73, 0
	v_or_b32_e32 v2, 0x100, v46
	v_lshlrev_b64 v[0:1], 3, v[72:73]
	v_add_co_u32 v0, vcc_lo, s38, v0
	v_add_co_ci_u32_e64 v1, null, s39, v1, vcc_lo
	global_load_dwordx2 v[0:1], v[0:1], off
.LBB3_5:
	s_or_b32 exec_lo, exec_lo, s4
	s_mov_b32 s4, exec_lo
	v_cmpx_gt_i32_e64 s27, v2
	s_cbranch_execz .LBB3_7
; %bb.6:
	v_add_nc_u32_e32 v3, s28, v2
	v_mov_b32_e32 v4, 0
	v_add_nc_u32_e32 v2, 0x100, v2
	v_lshlrev_b64 v[3:4], 3, v[3:4]
	v_add_co_u32 v3, vcc_lo, s38, v3
	v_add_co_ci_u32_e64 v4, null, s39, v4, vcc_lo
	global_load_dwordx2 v[42:43], v[3:4], off
.LBB3_7:
	s_or_b32 exec_lo, exec_lo, s4
	v_mov_b32_e32 v40, 0
	v_mov_b32_e32 v44, 0
	;; [unrolled: 1-line block ×4, first 2 shown]
	s_mov_b32 s4, exec_lo
	v_cmpx_gt_i32_e64 s27, v2
	s_cbranch_execz .LBB3_9
; %bb.8:
	v_add_nc_u32_e32 v3, s28, v2
	v_mov_b32_e32 v4, 0
	v_add_nc_u32_e32 v2, 0x100, v2
	v_lshlrev_b64 v[3:4], 3, v[3:4]
	v_add_co_u32 v3, vcc_lo, s38, v3
	v_add_co_ci_u32_e64 v4, null, s39, v4, vcc_lo
	global_load_dwordx2 v[44:45], v[3:4], off
.LBB3_9:
	s_or_b32 exec_lo, exec_lo, s4
	s_mov_b32 s4, exec_lo
	v_cmpx_gt_i32_e64 s27, v2
	s_cbranch_execz .LBB3_11
; %bb.10:
	v_add_nc_u32_e32 v2, s28, v2
	v_mov_b32_e32 v3, 0
	v_lshlrev_b64 v[2:3], 3, v[2:3]
	v_add_co_u32 v2, vcc_lo, s38, v2
	v_add_co_ci_u32_e64 v3, null, s39, v3, vcc_lo
	global_load_dwordx2 v[40:41], v[2:3], off
.LBB3_11:
	s_or_b32 exec_lo, exec_lo, s4
	v_mov_b32_e32 v56, 0
	v_mov_b32_e32 v57, v56
	;; [unrolled: 1-line block ×8, first 2 shown]
	s_and_saveexec_b32 s29, s26
	s_cbranch_execz .LBB3_13
; %bb.12:
	s_getpc_b64 s[4:5]
	s_add_u32 s4, s4, _ZZZZN2at6native12_GLOBAL__N_121bessel_j1_kernel_cudaERNS_18TensorIteratorBaseEENKUlvE_clEvENKUlvE_clEvENKUldE_clEd@rel32@lo+4
	s_addc_u32 s5, s5, _ZZZZN2at6native12_GLOBAL__N_121bessel_j1_kernel_cudaERNS_18TensorIteratorBaseEENKUlvE_clEvENKUlvE_clEvENKUldE_clEd@rel32@hi+12
	s_swappc_b64 s[30:31], s[4:5]
	v_mov_b32_e32 v7, v56
	v_mov_b32_e32 v2, v56
	v_mov_b32_e32 v3, v56
	v_mov_b32_e32 v4, v56
	v_mov_b32_e32 v5, v56
	v_mov_b32_e32 v6, v56
	v_mov_b32_e32 v63, v7
	v_mov_b32_e32 v59, v3
	v_mov_b32_e32 v60, v4
	v_mov_b32_e32 v61, v5
	v_mov_b32_e32 v62, v6
	v_mov_b32_e32 v58, v2
	v_mov_b32_e32 v57, v1
	v_mov_b32_e32 v56, v0
.LBB3_13:
	s_or_b32 exec_lo, exec_lo, s29
	s_mov_b32 s29, exec_lo
	v_cmpx_gt_i32_e64 s27, v47
	s_cbranch_execz .LBB3_15
; %bb.14:
	s_waitcnt vmcnt(0)
	v_mov_b32_e32 v0, v42
	v_mov_b32_e32 v1, v43
	s_getpc_b64 s[4:5]
	s_add_u32 s4, s4, _ZZZZN2at6native12_GLOBAL__N_121bessel_j1_kernel_cudaERNS_18TensorIteratorBaseEENKUlvE_clEvENKUlvE_clEvENKUldE_clEd@rel32@lo+4
	s_addc_u32 s5, s5, _ZZZZN2at6native12_GLOBAL__N_121bessel_j1_kernel_cudaERNS_18TensorIteratorBaseEENKUlvE_clEvENKUlvE_clEvENKUldE_clEd@rel32@hi+12
	s_swappc_b64 s[30:31], s[4:5]
	v_mov_b32_e32 v58, v0
	v_mov_b32_e32 v59, v1
.LBB3_15:
	s_or_b32 exec_lo, exec_lo, s29
	s_waitcnt vmcnt(0)
	v_or_b32_e32 v0, 0x200, v46
	s_mov_b32 s29, exec_lo
	v_cmpx_gt_i32_e64 s27, v0
	s_cbranch_execz .LBB3_17
; %bb.16:
	v_mov_b32_e32 v0, v44
	v_mov_b32_e32 v1, v45
	s_getpc_b64 s[4:5]
	s_add_u32 s4, s4, _ZZZZN2at6native12_GLOBAL__N_121bessel_j1_kernel_cudaERNS_18TensorIteratorBaseEENKUlvE_clEvENKUlvE_clEvENKUldE_clEd@rel32@lo+4
	s_addc_u32 s5, s5, _ZZZZN2at6native12_GLOBAL__N_121bessel_j1_kernel_cudaERNS_18TensorIteratorBaseEENKUlvE_clEvENKUlvE_clEvENKUldE_clEd@rel32@hi+12
	s_swappc_b64 s[30:31], s[4:5]
	v_mov_b32_e32 v60, v0
	v_mov_b32_e32 v61, v1
.LBB3_17:
	s_or_b32 exec_lo, exec_lo, s29
	v_or_b32_e32 v0, 0x300, v46
	s_mov_b32 s29, exec_lo
	v_cmpx_gt_i32_e64 s27, v0
	s_cbranch_execnz .LBB3_24
; %bb.18:
	s_or_b32 exec_lo, exec_lo, s29
	s_and_saveexec_b32 s4, s26
	s_xor_b32 s4, exec_lo, s4
	s_cbranch_execnz .LBB3_25
.LBB3_19:
	s_or_b32 exec_lo, exec_lo, s4
	s_mov_b32 s4, exec_lo
	v_cmpx_gt_i32_e64 s27, v46
	s_cbranch_execnz .LBB3_26
.LBB3_20:
	s_or_b32 exec_lo, exec_lo, s4
	s_mov_b32 s4, exec_lo
	v_cmpx_gt_i32_e64 s27, v46
	s_cbranch_execnz .LBB3_27
.LBB3_21:
	s_or_b32 exec_lo, exec_lo, s4
	s_mov_b32 s4, exec_lo
	v_cmpx_gt_i32_e64 s27, v46
	s_cbranch_execz .LBB3_23
.LBB3_22:
	v_add_nc_u32_e32 v0, s28, v46
	v_mov_b32_e32 v1, 0
	v_lshlrev_b64 v[0:1], 3, v[0:1]
	v_add_co_u32 v0, vcc_lo, s36, v0
	v_add_co_ci_u32_e64 v1, null, s37, v1, vcc_lo
	global_store_dwordx2 v[0:1], v[62:63], off
.LBB3_23:
	s_endpgm
.LBB3_24:
	v_mov_b32_e32 v0, v40
	v_mov_b32_e32 v1, v41
	s_getpc_b64 s[4:5]
	s_add_u32 s4, s4, _ZZZZN2at6native12_GLOBAL__N_121bessel_j1_kernel_cudaERNS_18TensorIteratorBaseEENKUlvE_clEvENKUlvE_clEvENKUldE_clEd@rel32@lo+4
	s_addc_u32 s5, s5, _ZZZZN2at6native12_GLOBAL__N_121bessel_j1_kernel_cudaERNS_18TensorIteratorBaseEENKUlvE_clEvENKUlvE_clEvENKUldE_clEd@rel32@hi+12
	s_swappc_b64 s[30:31], s[4:5]
	v_mov_b32_e32 v62, v0
	v_mov_b32_e32 v63, v1
	s_or_b32 exec_lo, exec_lo, s29
	s_and_saveexec_b32 s4, s26
	s_xor_b32 s4, exec_lo, s4
	s_cbranch_execz .LBB3_19
.LBB3_25:
	v_mov_b32_e32 v73, 0
	v_mov_b32_e32 v46, v47
	v_lshlrev_b64 v[0:1], 3, v[72:73]
	v_add_co_u32 v0, vcc_lo, s36, v0
	v_add_co_ci_u32_e64 v1, null, s37, v1, vcc_lo
	global_store_dwordx2 v[0:1], v[56:57], off
	s_or_b32 exec_lo, exec_lo, s4
	s_mov_b32 s4, exec_lo
	v_cmpx_gt_i32_e64 s27, v46
	s_cbranch_execz .LBB3_20
.LBB3_26:
	v_add_nc_u32_e32 v0, s28, v46
	v_mov_b32_e32 v1, 0
	v_add_nc_u32_e32 v46, 0x100, v46
	v_lshlrev_b64 v[0:1], 3, v[0:1]
	v_add_co_u32 v0, vcc_lo, s36, v0
	v_add_co_ci_u32_e64 v1, null, s37, v1, vcc_lo
	global_store_dwordx2 v[0:1], v[58:59], off
	s_or_b32 exec_lo, exec_lo, s4
	s_mov_b32 s4, exec_lo
	v_cmpx_gt_i32_e64 s27, v46
	s_cbranch_execz .LBB3_21
.LBB3_27:
	v_add_nc_u32_e32 v0, s28, v46
	v_mov_b32_e32 v1, 0
	v_add_nc_u32_e32 v46, 0x100, v46
	v_lshlrev_b64 v[0:1], 3, v[0:1]
	v_add_co_u32 v0, vcc_lo, s36, v0
	v_add_co_ci_u32_e64 v1, null, s37, v1, vcc_lo
	global_store_dwordx2 v[0:1], v[60:61], off
	s_or_b32 exec_lo, exec_lo, s4
	s_mov_b32 s4, exec_lo
	v_cmpx_gt_i32_e64 s27, v46
	s_cbranch_execnz .LBB3_22
	s_branch .LBB3_23
	.section	.rodata,"a",@progbits
	.p2align	6, 0x0
	.amdhsa_kernel _ZN2at6native29vectorized_elementwise_kernelILi4EZZZNS0_12_GLOBAL__N_121bessel_j1_kernel_cudaERNS_18TensorIteratorBaseEENKUlvE_clEvENKUlvE_clEvEUldE_St5arrayIPcLm2EEEEviT0_T1_
		.amdhsa_group_segment_fixed_size 0
		.amdhsa_private_segment_fixed_size 0
		.amdhsa_kernarg_size 24
		.amdhsa_user_sgpr_count 6
		.amdhsa_user_sgpr_private_segment_buffer 1
		.amdhsa_user_sgpr_dispatch_ptr 0
		.amdhsa_user_sgpr_queue_ptr 0
		.amdhsa_user_sgpr_kernarg_segment_ptr 1
		.amdhsa_user_sgpr_dispatch_id 0
		.amdhsa_user_sgpr_flat_scratch_init 0
		.amdhsa_user_sgpr_private_segment_size 0
		.amdhsa_wavefront_size32 1
		.amdhsa_uses_dynamic_stack 0
		.amdhsa_system_sgpr_private_segment_wavefront_offset 0
		.amdhsa_system_sgpr_workgroup_id_x 1
		.amdhsa_system_sgpr_workgroup_id_y 0
		.amdhsa_system_sgpr_workgroup_id_z 0
		.amdhsa_system_sgpr_workgroup_info 0
		.amdhsa_system_vgpr_workitem_id 0
		.amdhsa_next_free_vgpr 84
		.amdhsa_next_free_sgpr 42
		.amdhsa_reserve_vcc 1
		.amdhsa_reserve_flat_scratch 0
		.amdhsa_float_round_mode_32 0
		.amdhsa_float_round_mode_16_64 0
		.amdhsa_float_denorm_mode_32 3
		.amdhsa_float_denorm_mode_16_64 3
		.amdhsa_dx10_clamp 1
		.amdhsa_ieee_mode 1
		.amdhsa_fp16_overflow 0
		.amdhsa_workgroup_processor_mode 1
		.amdhsa_memory_ordered 1
		.amdhsa_forward_progress 1
		.amdhsa_shared_vgpr_count 0
		.amdhsa_exception_fp_ieee_invalid_op 0
		.amdhsa_exception_fp_denorm_src 0
		.amdhsa_exception_fp_ieee_div_zero 0
		.amdhsa_exception_fp_ieee_overflow 0
		.amdhsa_exception_fp_ieee_underflow 0
		.amdhsa_exception_fp_ieee_inexact 0
		.amdhsa_exception_int_div_zero 0
	.end_amdhsa_kernel
	.section	.text._ZN2at6native29vectorized_elementwise_kernelILi4EZZZNS0_12_GLOBAL__N_121bessel_j1_kernel_cudaERNS_18TensorIteratorBaseEENKUlvE_clEvENKUlvE_clEvEUldE_St5arrayIPcLm2EEEEviT0_T1_,"axG",@progbits,_ZN2at6native29vectorized_elementwise_kernelILi4EZZZNS0_12_GLOBAL__N_121bessel_j1_kernel_cudaERNS_18TensorIteratorBaseEENKUlvE_clEvENKUlvE_clEvEUldE_St5arrayIPcLm2EEEEviT0_T1_,comdat
.Lfunc_end3:
	.size	_ZN2at6native29vectorized_elementwise_kernelILi4EZZZNS0_12_GLOBAL__N_121bessel_j1_kernel_cudaERNS_18TensorIteratorBaseEENKUlvE_clEvENKUlvE_clEvEUldE_St5arrayIPcLm2EEEEviT0_T1_, .Lfunc_end3-_ZN2at6native29vectorized_elementwise_kernelILi4EZZZNS0_12_GLOBAL__N_121bessel_j1_kernel_cudaERNS_18TensorIteratorBaseEENKUlvE_clEvENKUlvE_clEvEUldE_St5arrayIPcLm2EEEEviT0_T1_
                                        ; -- End function
	.set _ZN2at6native29vectorized_elementwise_kernelILi4EZZZNS0_12_GLOBAL__N_121bessel_j1_kernel_cudaERNS_18TensorIteratorBaseEENKUlvE_clEvENKUlvE_clEvEUldE_St5arrayIPcLm2EEEEviT0_T1_.num_vgpr, max(74, .L_ZZZZN2at6native12_GLOBAL__N_121bessel_j1_kernel_cudaERNS_18TensorIteratorBaseEENKUlvE_clEvENKUlvE_clEvENKUldE_clEd.num_vgpr)
	.set _ZN2at6native29vectorized_elementwise_kernelILi4EZZZNS0_12_GLOBAL__N_121bessel_j1_kernel_cudaERNS_18TensorIteratorBaseEENKUlvE_clEvENKUlvE_clEvEUldE_St5arrayIPcLm2EEEEviT0_T1_.num_agpr, max(0, .L_ZZZZN2at6native12_GLOBAL__N_121bessel_j1_kernel_cudaERNS_18TensorIteratorBaseEENKUlvE_clEvENKUlvE_clEvENKUldE_clEd.num_agpr)
	.set _ZN2at6native29vectorized_elementwise_kernelILi4EZZZNS0_12_GLOBAL__N_121bessel_j1_kernel_cudaERNS_18TensorIteratorBaseEENKUlvE_clEvENKUlvE_clEvEUldE_St5arrayIPcLm2EEEEviT0_T1_.numbered_sgpr, max(42, .L_ZZZZN2at6native12_GLOBAL__N_121bessel_j1_kernel_cudaERNS_18TensorIteratorBaseEENKUlvE_clEvENKUlvE_clEvENKUldE_clEd.numbered_sgpr)
	.set _ZN2at6native29vectorized_elementwise_kernelILi4EZZZNS0_12_GLOBAL__N_121bessel_j1_kernel_cudaERNS_18TensorIteratorBaseEENKUlvE_clEvENKUlvE_clEvEUldE_St5arrayIPcLm2EEEEviT0_T1_.num_named_barrier, max(0, .L_ZZZZN2at6native12_GLOBAL__N_121bessel_j1_kernel_cudaERNS_18TensorIteratorBaseEENKUlvE_clEvENKUlvE_clEvENKUldE_clEd.num_named_barrier)
	.set _ZN2at6native29vectorized_elementwise_kernelILi4EZZZNS0_12_GLOBAL__N_121bessel_j1_kernel_cudaERNS_18TensorIteratorBaseEENKUlvE_clEvENKUlvE_clEvEUldE_St5arrayIPcLm2EEEEviT0_T1_.private_seg_size, 0+max(.L_ZZZZN2at6native12_GLOBAL__N_121bessel_j1_kernel_cudaERNS_18TensorIteratorBaseEENKUlvE_clEvENKUlvE_clEvENKUldE_clEd.private_seg_size)
	.set _ZN2at6native29vectorized_elementwise_kernelILi4EZZZNS0_12_GLOBAL__N_121bessel_j1_kernel_cudaERNS_18TensorIteratorBaseEENKUlvE_clEvENKUlvE_clEvEUldE_St5arrayIPcLm2EEEEviT0_T1_.uses_vcc, or(1, .L_ZZZZN2at6native12_GLOBAL__N_121bessel_j1_kernel_cudaERNS_18TensorIteratorBaseEENKUlvE_clEvENKUlvE_clEvENKUldE_clEd.uses_vcc)
	.set _ZN2at6native29vectorized_elementwise_kernelILi4EZZZNS0_12_GLOBAL__N_121bessel_j1_kernel_cudaERNS_18TensorIteratorBaseEENKUlvE_clEvENKUlvE_clEvEUldE_St5arrayIPcLm2EEEEviT0_T1_.uses_flat_scratch, or(0, .L_ZZZZN2at6native12_GLOBAL__N_121bessel_j1_kernel_cudaERNS_18TensorIteratorBaseEENKUlvE_clEvENKUlvE_clEvENKUldE_clEd.uses_flat_scratch)
	.set _ZN2at6native29vectorized_elementwise_kernelILi4EZZZNS0_12_GLOBAL__N_121bessel_j1_kernel_cudaERNS_18TensorIteratorBaseEENKUlvE_clEvENKUlvE_clEvEUldE_St5arrayIPcLm2EEEEviT0_T1_.has_dyn_sized_stack, or(0, .L_ZZZZN2at6native12_GLOBAL__N_121bessel_j1_kernel_cudaERNS_18TensorIteratorBaseEENKUlvE_clEvENKUlvE_clEvENKUldE_clEd.has_dyn_sized_stack)
	.set _ZN2at6native29vectorized_elementwise_kernelILi4EZZZNS0_12_GLOBAL__N_121bessel_j1_kernel_cudaERNS_18TensorIteratorBaseEENKUlvE_clEvENKUlvE_clEvEUldE_St5arrayIPcLm2EEEEviT0_T1_.has_recursion, or(0, .L_ZZZZN2at6native12_GLOBAL__N_121bessel_j1_kernel_cudaERNS_18TensorIteratorBaseEENKUlvE_clEvENKUlvE_clEvENKUldE_clEd.has_recursion)
	.set _ZN2at6native29vectorized_elementwise_kernelILi4EZZZNS0_12_GLOBAL__N_121bessel_j1_kernel_cudaERNS_18TensorIteratorBaseEENKUlvE_clEvENKUlvE_clEvEUldE_St5arrayIPcLm2EEEEviT0_T1_.has_indirect_call, or(0, .L_ZZZZN2at6native12_GLOBAL__N_121bessel_j1_kernel_cudaERNS_18TensorIteratorBaseEENKUlvE_clEvENKUlvE_clEvENKUldE_clEd.has_indirect_call)
	.section	.AMDGPU.csdata,"",@progbits
; Kernel info:
; codeLenInByte = 1208
; TotalNumSgprs: 44
; NumVgprs: 84
; ScratchSize: 0
; MemoryBound: 0
; FloatMode: 240
; IeeeMode: 1
; LDSByteSize: 0 bytes/workgroup (compile time only)
; SGPRBlocks: 0
; VGPRBlocks: 10
; NumSGPRsForWavesPerEU: 44
; NumVGPRsForWavesPerEU: 84
; Occupancy: 10
; WaveLimiterHint : 0
; COMPUTE_PGM_RSRC2:SCRATCH_EN: 0
; COMPUTE_PGM_RSRC2:USER_SGPR: 6
; COMPUTE_PGM_RSRC2:TRAP_HANDLER: 0
; COMPUTE_PGM_RSRC2:TGID_X_EN: 1
; COMPUTE_PGM_RSRC2:TGID_Y_EN: 0
; COMPUTE_PGM_RSRC2:TGID_Z_EN: 0
; COMPUTE_PGM_RSRC2:TIDIG_COMP_CNT: 0
	.section	.text._ZN2at6native29vectorized_elementwise_kernelILi2EZZZNS0_12_GLOBAL__N_121bessel_j1_kernel_cudaERNS_18TensorIteratorBaseEENKUlvE_clEvENKUlvE_clEvEUldE_St5arrayIPcLm2EEEEviT0_T1_,"axG",@progbits,_ZN2at6native29vectorized_elementwise_kernelILi2EZZZNS0_12_GLOBAL__N_121bessel_j1_kernel_cudaERNS_18TensorIteratorBaseEENKUlvE_clEvENKUlvE_clEvEUldE_St5arrayIPcLm2EEEEviT0_T1_,comdat
	.globl	_ZN2at6native29vectorized_elementwise_kernelILi2EZZZNS0_12_GLOBAL__N_121bessel_j1_kernel_cudaERNS_18TensorIteratorBaseEENKUlvE_clEvENKUlvE_clEvEUldE_St5arrayIPcLm2EEEEviT0_T1_ ; -- Begin function _ZN2at6native29vectorized_elementwise_kernelILi2EZZZNS0_12_GLOBAL__N_121bessel_j1_kernel_cudaERNS_18TensorIteratorBaseEENKUlvE_clEvENKUlvE_clEvEUldE_St5arrayIPcLm2EEEEviT0_T1_
	.p2align	8
	.type	_ZN2at6native29vectorized_elementwise_kernelILi2EZZZNS0_12_GLOBAL__N_121bessel_j1_kernel_cudaERNS_18TensorIteratorBaseEENKUlvE_clEvENKUlvE_clEvEUldE_St5arrayIPcLm2EEEEviT0_T1_,@function
_ZN2at6native29vectorized_elementwise_kernelILi2EZZZNS0_12_GLOBAL__N_121bessel_j1_kernel_cudaERNS_18TensorIteratorBaseEENKUlvE_clEvENKUlvE_clEvEUldE_St5arrayIPcLm2EEEEviT0_T1_: ; @_ZN2at6native29vectorized_elementwise_kernelILi2EZZZNS0_12_GLOBAL__N_121bessel_j1_kernel_cudaERNS_18TensorIteratorBaseEENKUlvE_clEvENKUlvE_clEvEUldE_St5arrayIPcLm2EEEEviT0_T1_
; %bb.0:
	s_add_u32 s0, s0, s7
	s_clause 0x1
	s_load_dword s7, s[4:5], 0x0
	s_load_dwordx4 s[36:39], s[4:5], 0x8
	s_addc_u32 s1, s1, 0
	s_lshl_b32 s28, s6, 10
	v_mov_b32_e32 v46, v0
	s_mov_b32 s26, -1
	s_mov_b32 s32, 0
	s_waitcnt lgkmcnt(0)
	s_sub_i32 s27, s7, s28
	s_cmpk_gt_i32 s27, 0x3ff
	s_cbranch_scc0 .LBB4_2
; %bb.1:
	s_ashr_i32 s29, s28, 31
	v_lshlrev_b32_e32 v44, 4, v46
	s_lshl_b64 s[34:35], s[28:29], 3
	s_mov_b32 s26, 0
	s_add_u32 s4, s38, s34
	s_addc_u32 s5, s39, s35
	v_add_co_u32 v0, s6, s4, v44
	v_add_co_ci_u32_e64 v1, null, s5, 0, s6
	global_load_dwordx4 v[40:43], v44, s[4:5]
	v_add_co_u32 v0, vcc_lo, 0x1000, v0
	v_add_co_ci_u32_e64 v1, null, 0, v1, vcc_lo
	s_getpc_b64 s[40:41]
	s_add_u32 s40, s40, _ZZZZN2at6native12_GLOBAL__N_121bessel_j1_kernel_cudaERNS_18TensorIteratorBaseEENKUlvE_clEvENKUlvE_clEvENKUldE_clEd@rel32@lo+4
	s_addc_u32 s41, s41, _ZZZZN2at6native12_GLOBAL__N_121bessel_j1_kernel_cudaERNS_18TensorIteratorBaseEENKUlvE_clEvENKUlvE_clEvENKUldE_clEd@rel32@hi+12
	global_load_dwordx4 v[56:59], v[0:1], off
	s_waitcnt vmcnt(1)
	v_mov_b32_e32 v0, v40
	v_mov_b32_e32 v1, v41
	s_swappc_b64 s[30:31], s[40:41]
	v_mov_b32_e32 v40, v0
	v_mov_b32_e32 v41, v1
	v_mov_b32_e32 v0, v42
	v_mov_b32_e32 v1, v43
	s_swappc_b64 s[30:31], s[40:41]
	v_mov_b32_e32 v42, v0
	v_mov_b32_e32 v43, v1
	;; [unrolled: 5-line block ×3, first 2 shown]
	v_mov_b32_e32 v0, v58
	v_mov_b32_e32 v1, v59
	s_swappc_b64 s[30:31], s[40:41]
	s_add_u32 s4, s36, s34
	v_mov_b32_e32 v58, v0
	s_addc_u32 s5, s37, s35
	v_add_co_u32 v0, s6, s4, v44
	v_mov_b32_e32 v59, v1
	v_add_co_ci_u32_e64 v1, null, s5, 0, s6
	v_add_co_u32 v0, vcc_lo, 0x1000, v0
	v_add_co_ci_u32_e64 v1, null, 0, v1, vcc_lo
	global_store_dwordx4 v44, v[40:43], s[4:5]
	global_store_dwordx4 v[0:1], v[56:59], off
.LBB4_2:
	s_andn2_b32 vcc_lo, exec_lo, s26
	s_cbranch_vccnz .LBB4_23
; %bb.3:
	v_mov_b32_e32 v42, 0
	v_mov_b32_e32 v0, 0
	v_cmp_gt_i32_e64 s26, s27, v46
	v_mov_b32_e32 v43, 0
	v_or_b32_e32 v72, s28, v46
	v_or_b32_e32 v47, 0x100, v46
	v_mov_b32_e32 v1, 0
	v_mov_b32_e32 v2, v46
	s_and_saveexec_b32 s4, s26
	s_cbranch_execz .LBB4_5
; %bb.4:
	v_mov_b32_e32 v73, 0
	v_or_b32_e32 v2, 0x100, v46
	v_lshlrev_b64 v[0:1], 3, v[72:73]
	v_add_co_u32 v0, vcc_lo, s38, v0
	v_add_co_ci_u32_e64 v1, null, s39, v1, vcc_lo
	global_load_dwordx2 v[0:1], v[0:1], off
.LBB4_5:
	s_or_b32 exec_lo, exec_lo, s4
	s_mov_b32 s4, exec_lo
	v_cmpx_gt_i32_e64 s27, v2
	s_cbranch_execz .LBB4_7
; %bb.6:
	v_add_nc_u32_e32 v3, s28, v2
	v_mov_b32_e32 v4, 0
	v_add_nc_u32_e32 v2, 0x100, v2
	v_lshlrev_b64 v[3:4], 3, v[3:4]
	v_add_co_u32 v3, vcc_lo, s38, v3
	v_add_co_ci_u32_e64 v4, null, s39, v4, vcc_lo
	global_load_dwordx2 v[42:43], v[3:4], off
.LBB4_7:
	s_or_b32 exec_lo, exec_lo, s4
	v_mov_b32_e32 v40, 0
	v_mov_b32_e32 v44, 0
	;; [unrolled: 1-line block ×4, first 2 shown]
	s_mov_b32 s4, exec_lo
	v_cmpx_gt_i32_e64 s27, v2
	s_cbranch_execz .LBB4_9
; %bb.8:
	v_add_nc_u32_e32 v3, s28, v2
	v_mov_b32_e32 v4, 0
	v_add_nc_u32_e32 v2, 0x100, v2
	v_lshlrev_b64 v[3:4], 3, v[3:4]
	v_add_co_u32 v3, vcc_lo, s38, v3
	v_add_co_ci_u32_e64 v4, null, s39, v4, vcc_lo
	global_load_dwordx2 v[44:45], v[3:4], off
.LBB4_9:
	s_or_b32 exec_lo, exec_lo, s4
	s_mov_b32 s4, exec_lo
	v_cmpx_gt_i32_e64 s27, v2
	s_cbranch_execz .LBB4_11
; %bb.10:
	v_add_nc_u32_e32 v2, s28, v2
	v_mov_b32_e32 v3, 0
	v_lshlrev_b64 v[2:3], 3, v[2:3]
	v_add_co_u32 v2, vcc_lo, s38, v2
	v_add_co_ci_u32_e64 v3, null, s39, v3, vcc_lo
	global_load_dwordx2 v[40:41], v[2:3], off
.LBB4_11:
	s_or_b32 exec_lo, exec_lo, s4
	v_mov_b32_e32 v56, 0
	v_mov_b32_e32 v57, v56
	;; [unrolled: 1-line block ×8, first 2 shown]
	s_and_saveexec_b32 s29, s26
	s_cbranch_execz .LBB4_13
; %bb.12:
	s_getpc_b64 s[4:5]
	s_add_u32 s4, s4, _ZZZZN2at6native12_GLOBAL__N_121bessel_j1_kernel_cudaERNS_18TensorIteratorBaseEENKUlvE_clEvENKUlvE_clEvENKUldE_clEd@rel32@lo+4
	s_addc_u32 s5, s5, _ZZZZN2at6native12_GLOBAL__N_121bessel_j1_kernel_cudaERNS_18TensorIteratorBaseEENKUlvE_clEvENKUlvE_clEvENKUldE_clEd@rel32@hi+12
	s_swappc_b64 s[30:31], s[4:5]
	v_mov_b32_e32 v7, v56
	v_mov_b32_e32 v2, v56
	;; [unrolled: 1-line block ×14, first 2 shown]
.LBB4_13:
	s_or_b32 exec_lo, exec_lo, s29
	s_mov_b32 s29, exec_lo
	v_cmpx_gt_i32_e64 s27, v47
	s_cbranch_execz .LBB4_15
; %bb.14:
	s_waitcnt vmcnt(0)
	v_mov_b32_e32 v0, v42
	v_mov_b32_e32 v1, v43
	s_getpc_b64 s[4:5]
	s_add_u32 s4, s4, _ZZZZN2at6native12_GLOBAL__N_121bessel_j1_kernel_cudaERNS_18TensorIteratorBaseEENKUlvE_clEvENKUlvE_clEvENKUldE_clEd@rel32@lo+4
	s_addc_u32 s5, s5, _ZZZZN2at6native12_GLOBAL__N_121bessel_j1_kernel_cudaERNS_18TensorIteratorBaseEENKUlvE_clEvENKUlvE_clEvENKUldE_clEd@rel32@hi+12
	s_swappc_b64 s[30:31], s[4:5]
	v_mov_b32_e32 v58, v0
	v_mov_b32_e32 v59, v1
.LBB4_15:
	s_or_b32 exec_lo, exec_lo, s29
	s_waitcnt vmcnt(0)
	v_or_b32_e32 v0, 0x200, v46
	s_mov_b32 s29, exec_lo
	v_cmpx_gt_i32_e64 s27, v0
	s_cbranch_execz .LBB4_17
; %bb.16:
	v_mov_b32_e32 v0, v44
	v_mov_b32_e32 v1, v45
	s_getpc_b64 s[4:5]
	s_add_u32 s4, s4, _ZZZZN2at6native12_GLOBAL__N_121bessel_j1_kernel_cudaERNS_18TensorIteratorBaseEENKUlvE_clEvENKUlvE_clEvENKUldE_clEd@rel32@lo+4
	s_addc_u32 s5, s5, _ZZZZN2at6native12_GLOBAL__N_121bessel_j1_kernel_cudaERNS_18TensorIteratorBaseEENKUlvE_clEvENKUlvE_clEvENKUldE_clEd@rel32@hi+12
	s_swappc_b64 s[30:31], s[4:5]
	v_mov_b32_e32 v60, v0
	v_mov_b32_e32 v61, v1
.LBB4_17:
	s_or_b32 exec_lo, exec_lo, s29
	v_or_b32_e32 v0, 0x300, v46
	s_mov_b32 s29, exec_lo
	v_cmpx_gt_i32_e64 s27, v0
	s_cbranch_execnz .LBB4_24
; %bb.18:
	s_or_b32 exec_lo, exec_lo, s29
	s_and_saveexec_b32 s4, s26
	s_xor_b32 s4, exec_lo, s4
	s_cbranch_execnz .LBB4_25
.LBB4_19:
	s_or_b32 exec_lo, exec_lo, s4
	s_mov_b32 s4, exec_lo
	v_cmpx_gt_i32_e64 s27, v46
	s_cbranch_execnz .LBB4_26
.LBB4_20:
	s_or_b32 exec_lo, exec_lo, s4
	s_mov_b32 s4, exec_lo
	v_cmpx_gt_i32_e64 s27, v46
	s_cbranch_execnz .LBB4_27
.LBB4_21:
	s_or_b32 exec_lo, exec_lo, s4
	s_mov_b32 s4, exec_lo
	v_cmpx_gt_i32_e64 s27, v46
	s_cbranch_execz .LBB4_23
.LBB4_22:
	v_add_nc_u32_e32 v0, s28, v46
	v_mov_b32_e32 v1, 0
	v_lshlrev_b64 v[0:1], 3, v[0:1]
	v_add_co_u32 v0, vcc_lo, s36, v0
	v_add_co_ci_u32_e64 v1, null, s37, v1, vcc_lo
	global_store_dwordx2 v[0:1], v[62:63], off
.LBB4_23:
	s_endpgm
.LBB4_24:
	v_mov_b32_e32 v0, v40
	v_mov_b32_e32 v1, v41
	s_getpc_b64 s[4:5]
	s_add_u32 s4, s4, _ZZZZN2at6native12_GLOBAL__N_121bessel_j1_kernel_cudaERNS_18TensorIteratorBaseEENKUlvE_clEvENKUlvE_clEvENKUldE_clEd@rel32@lo+4
	s_addc_u32 s5, s5, _ZZZZN2at6native12_GLOBAL__N_121bessel_j1_kernel_cudaERNS_18TensorIteratorBaseEENKUlvE_clEvENKUlvE_clEvENKUldE_clEd@rel32@hi+12
	s_swappc_b64 s[30:31], s[4:5]
	v_mov_b32_e32 v62, v0
	v_mov_b32_e32 v63, v1
	s_or_b32 exec_lo, exec_lo, s29
	s_and_saveexec_b32 s4, s26
	s_xor_b32 s4, exec_lo, s4
	s_cbranch_execz .LBB4_19
.LBB4_25:
	v_mov_b32_e32 v73, 0
	v_mov_b32_e32 v46, v47
	v_lshlrev_b64 v[0:1], 3, v[72:73]
	v_add_co_u32 v0, vcc_lo, s36, v0
	v_add_co_ci_u32_e64 v1, null, s37, v1, vcc_lo
	global_store_dwordx2 v[0:1], v[56:57], off
	s_or_b32 exec_lo, exec_lo, s4
	s_mov_b32 s4, exec_lo
	v_cmpx_gt_i32_e64 s27, v46
	s_cbranch_execz .LBB4_20
.LBB4_26:
	v_add_nc_u32_e32 v0, s28, v46
	v_mov_b32_e32 v1, 0
	v_add_nc_u32_e32 v46, 0x100, v46
	v_lshlrev_b64 v[0:1], 3, v[0:1]
	v_add_co_u32 v0, vcc_lo, s36, v0
	v_add_co_ci_u32_e64 v1, null, s37, v1, vcc_lo
	global_store_dwordx2 v[0:1], v[58:59], off
	s_or_b32 exec_lo, exec_lo, s4
	s_mov_b32 s4, exec_lo
	v_cmpx_gt_i32_e64 s27, v46
	s_cbranch_execz .LBB4_21
.LBB4_27:
	v_add_nc_u32_e32 v0, s28, v46
	v_mov_b32_e32 v1, 0
	v_add_nc_u32_e32 v46, 0x100, v46
	v_lshlrev_b64 v[0:1], 3, v[0:1]
	v_add_co_u32 v0, vcc_lo, s36, v0
	v_add_co_ci_u32_e64 v1, null, s37, v1, vcc_lo
	global_store_dwordx2 v[0:1], v[60:61], off
	s_or_b32 exec_lo, exec_lo, s4
	s_mov_b32 s4, exec_lo
	v_cmpx_gt_i32_e64 s27, v46
	s_cbranch_execnz .LBB4_22
	s_branch .LBB4_23
	.section	.rodata,"a",@progbits
	.p2align	6, 0x0
	.amdhsa_kernel _ZN2at6native29vectorized_elementwise_kernelILi2EZZZNS0_12_GLOBAL__N_121bessel_j1_kernel_cudaERNS_18TensorIteratorBaseEENKUlvE_clEvENKUlvE_clEvEUldE_St5arrayIPcLm2EEEEviT0_T1_
		.amdhsa_group_segment_fixed_size 0
		.amdhsa_private_segment_fixed_size 0
		.amdhsa_kernarg_size 24
		.amdhsa_user_sgpr_count 6
		.amdhsa_user_sgpr_private_segment_buffer 1
		.amdhsa_user_sgpr_dispatch_ptr 0
		.amdhsa_user_sgpr_queue_ptr 0
		.amdhsa_user_sgpr_kernarg_segment_ptr 1
		.amdhsa_user_sgpr_dispatch_id 0
		.amdhsa_user_sgpr_flat_scratch_init 0
		.amdhsa_user_sgpr_private_segment_size 0
		.amdhsa_wavefront_size32 1
		.amdhsa_uses_dynamic_stack 0
		.amdhsa_system_sgpr_private_segment_wavefront_offset 0
		.amdhsa_system_sgpr_workgroup_id_x 1
		.amdhsa_system_sgpr_workgroup_id_y 0
		.amdhsa_system_sgpr_workgroup_id_z 0
		.amdhsa_system_sgpr_workgroup_info 0
		.amdhsa_system_vgpr_workitem_id 0
		.amdhsa_next_free_vgpr 84
		.amdhsa_next_free_sgpr 42
		.amdhsa_reserve_vcc 1
		.amdhsa_reserve_flat_scratch 0
		.amdhsa_float_round_mode_32 0
		.amdhsa_float_round_mode_16_64 0
		.amdhsa_float_denorm_mode_32 3
		.amdhsa_float_denorm_mode_16_64 3
		.amdhsa_dx10_clamp 1
		.amdhsa_ieee_mode 1
		.amdhsa_fp16_overflow 0
		.amdhsa_workgroup_processor_mode 1
		.amdhsa_memory_ordered 1
		.amdhsa_forward_progress 1
		.amdhsa_shared_vgpr_count 0
		.amdhsa_exception_fp_ieee_invalid_op 0
		.amdhsa_exception_fp_denorm_src 0
		.amdhsa_exception_fp_ieee_div_zero 0
		.amdhsa_exception_fp_ieee_overflow 0
		.amdhsa_exception_fp_ieee_underflow 0
		.amdhsa_exception_fp_ieee_inexact 0
		.amdhsa_exception_int_div_zero 0
	.end_amdhsa_kernel
	.section	.text._ZN2at6native29vectorized_elementwise_kernelILi2EZZZNS0_12_GLOBAL__N_121bessel_j1_kernel_cudaERNS_18TensorIteratorBaseEENKUlvE_clEvENKUlvE_clEvEUldE_St5arrayIPcLm2EEEEviT0_T1_,"axG",@progbits,_ZN2at6native29vectorized_elementwise_kernelILi2EZZZNS0_12_GLOBAL__N_121bessel_j1_kernel_cudaERNS_18TensorIteratorBaseEENKUlvE_clEvENKUlvE_clEvEUldE_St5arrayIPcLm2EEEEviT0_T1_,comdat
.Lfunc_end4:
	.size	_ZN2at6native29vectorized_elementwise_kernelILi2EZZZNS0_12_GLOBAL__N_121bessel_j1_kernel_cudaERNS_18TensorIteratorBaseEENKUlvE_clEvENKUlvE_clEvEUldE_St5arrayIPcLm2EEEEviT0_T1_, .Lfunc_end4-_ZN2at6native29vectorized_elementwise_kernelILi2EZZZNS0_12_GLOBAL__N_121bessel_j1_kernel_cudaERNS_18TensorIteratorBaseEENKUlvE_clEvENKUlvE_clEvEUldE_St5arrayIPcLm2EEEEviT0_T1_
                                        ; -- End function
	.set _ZN2at6native29vectorized_elementwise_kernelILi2EZZZNS0_12_GLOBAL__N_121bessel_j1_kernel_cudaERNS_18TensorIteratorBaseEENKUlvE_clEvENKUlvE_clEvEUldE_St5arrayIPcLm2EEEEviT0_T1_.num_vgpr, max(74, .L_ZZZZN2at6native12_GLOBAL__N_121bessel_j1_kernel_cudaERNS_18TensorIteratorBaseEENKUlvE_clEvENKUlvE_clEvENKUldE_clEd.num_vgpr)
	.set _ZN2at6native29vectorized_elementwise_kernelILi2EZZZNS0_12_GLOBAL__N_121bessel_j1_kernel_cudaERNS_18TensorIteratorBaseEENKUlvE_clEvENKUlvE_clEvEUldE_St5arrayIPcLm2EEEEviT0_T1_.num_agpr, max(0, .L_ZZZZN2at6native12_GLOBAL__N_121bessel_j1_kernel_cudaERNS_18TensorIteratorBaseEENKUlvE_clEvENKUlvE_clEvENKUldE_clEd.num_agpr)
	.set _ZN2at6native29vectorized_elementwise_kernelILi2EZZZNS0_12_GLOBAL__N_121bessel_j1_kernel_cudaERNS_18TensorIteratorBaseEENKUlvE_clEvENKUlvE_clEvEUldE_St5arrayIPcLm2EEEEviT0_T1_.numbered_sgpr, max(42, .L_ZZZZN2at6native12_GLOBAL__N_121bessel_j1_kernel_cudaERNS_18TensorIteratorBaseEENKUlvE_clEvENKUlvE_clEvENKUldE_clEd.numbered_sgpr)
	.set _ZN2at6native29vectorized_elementwise_kernelILi2EZZZNS0_12_GLOBAL__N_121bessel_j1_kernel_cudaERNS_18TensorIteratorBaseEENKUlvE_clEvENKUlvE_clEvEUldE_St5arrayIPcLm2EEEEviT0_T1_.num_named_barrier, max(0, .L_ZZZZN2at6native12_GLOBAL__N_121bessel_j1_kernel_cudaERNS_18TensorIteratorBaseEENKUlvE_clEvENKUlvE_clEvENKUldE_clEd.num_named_barrier)
	.set _ZN2at6native29vectorized_elementwise_kernelILi2EZZZNS0_12_GLOBAL__N_121bessel_j1_kernel_cudaERNS_18TensorIteratorBaseEENKUlvE_clEvENKUlvE_clEvEUldE_St5arrayIPcLm2EEEEviT0_T1_.private_seg_size, 0+max(.L_ZZZZN2at6native12_GLOBAL__N_121bessel_j1_kernel_cudaERNS_18TensorIteratorBaseEENKUlvE_clEvENKUlvE_clEvENKUldE_clEd.private_seg_size)
	.set _ZN2at6native29vectorized_elementwise_kernelILi2EZZZNS0_12_GLOBAL__N_121bessel_j1_kernel_cudaERNS_18TensorIteratorBaseEENKUlvE_clEvENKUlvE_clEvEUldE_St5arrayIPcLm2EEEEviT0_T1_.uses_vcc, or(1, .L_ZZZZN2at6native12_GLOBAL__N_121bessel_j1_kernel_cudaERNS_18TensorIteratorBaseEENKUlvE_clEvENKUlvE_clEvENKUldE_clEd.uses_vcc)
	.set _ZN2at6native29vectorized_elementwise_kernelILi2EZZZNS0_12_GLOBAL__N_121bessel_j1_kernel_cudaERNS_18TensorIteratorBaseEENKUlvE_clEvENKUlvE_clEvEUldE_St5arrayIPcLm2EEEEviT0_T1_.uses_flat_scratch, or(0, .L_ZZZZN2at6native12_GLOBAL__N_121bessel_j1_kernel_cudaERNS_18TensorIteratorBaseEENKUlvE_clEvENKUlvE_clEvENKUldE_clEd.uses_flat_scratch)
	.set _ZN2at6native29vectorized_elementwise_kernelILi2EZZZNS0_12_GLOBAL__N_121bessel_j1_kernel_cudaERNS_18TensorIteratorBaseEENKUlvE_clEvENKUlvE_clEvEUldE_St5arrayIPcLm2EEEEviT0_T1_.has_dyn_sized_stack, or(0, .L_ZZZZN2at6native12_GLOBAL__N_121bessel_j1_kernel_cudaERNS_18TensorIteratorBaseEENKUlvE_clEvENKUlvE_clEvENKUldE_clEd.has_dyn_sized_stack)
	.set _ZN2at6native29vectorized_elementwise_kernelILi2EZZZNS0_12_GLOBAL__N_121bessel_j1_kernel_cudaERNS_18TensorIteratorBaseEENKUlvE_clEvENKUlvE_clEvEUldE_St5arrayIPcLm2EEEEviT0_T1_.has_recursion, or(0, .L_ZZZZN2at6native12_GLOBAL__N_121bessel_j1_kernel_cudaERNS_18TensorIteratorBaseEENKUlvE_clEvENKUlvE_clEvENKUldE_clEd.has_recursion)
	.set _ZN2at6native29vectorized_elementwise_kernelILi2EZZZNS0_12_GLOBAL__N_121bessel_j1_kernel_cudaERNS_18TensorIteratorBaseEENKUlvE_clEvENKUlvE_clEvEUldE_St5arrayIPcLm2EEEEviT0_T1_.has_indirect_call, or(0, .L_ZZZZN2at6native12_GLOBAL__N_121bessel_j1_kernel_cudaERNS_18TensorIteratorBaseEENKUlvE_clEvENKUlvE_clEvENKUldE_clEd.has_indirect_call)
	.section	.AMDGPU.csdata,"",@progbits
; Kernel info:
; codeLenInByte = 1276
; TotalNumSgprs: 44
; NumVgprs: 84
; ScratchSize: 0
; MemoryBound: 0
; FloatMode: 240
; IeeeMode: 1
; LDSByteSize: 0 bytes/workgroup (compile time only)
; SGPRBlocks: 0
; VGPRBlocks: 10
; NumSGPRsForWavesPerEU: 44
; NumVGPRsForWavesPerEU: 84
; Occupancy: 10
; WaveLimiterHint : 1
; COMPUTE_PGM_RSRC2:SCRATCH_EN: 0
; COMPUTE_PGM_RSRC2:USER_SGPR: 6
; COMPUTE_PGM_RSRC2:TRAP_HANDLER: 0
; COMPUTE_PGM_RSRC2:TGID_X_EN: 1
; COMPUTE_PGM_RSRC2:TGID_Y_EN: 0
; COMPUTE_PGM_RSRC2:TGID_Z_EN: 0
; COMPUTE_PGM_RSRC2:TIDIG_COMP_CNT: 0
	.section	.text._ZN2at6native27unrolled_elementwise_kernelIZZZNS0_12_GLOBAL__N_121bessel_j1_kernel_cudaERNS_18TensorIteratorBaseEENKUlvE_clEvENKUlvE_clEvEUldE_St5arrayIPcLm2EELi4E23TrivialOffsetCalculatorILi1EjESC_NS0_6memory15LoadWithoutCastENSD_16StoreWithoutCastEEEviT_T0_T2_T3_T4_T5_,"axG",@progbits,_ZN2at6native27unrolled_elementwise_kernelIZZZNS0_12_GLOBAL__N_121bessel_j1_kernel_cudaERNS_18TensorIteratorBaseEENKUlvE_clEvENKUlvE_clEvEUldE_St5arrayIPcLm2EELi4E23TrivialOffsetCalculatorILi1EjESC_NS0_6memory15LoadWithoutCastENSD_16StoreWithoutCastEEEviT_T0_T2_T3_T4_T5_,comdat
	.globl	_ZN2at6native27unrolled_elementwise_kernelIZZZNS0_12_GLOBAL__N_121bessel_j1_kernel_cudaERNS_18TensorIteratorBaseEENKUlvE_clEvENKUlvE_clEvEUldE_St5arrayIPcLm2EELi4E23TrivialOffsetCalculatorILi1EjESC_NS0_6memory15LoadWithoutCastENSD_16StoreWithoutCastEEEviT_T0_T2_T3_T4_T5_ ; -- Begin function _ZN2at6native27unrolled_elementwise_kernelIZZZNS0_12_GLOBAL__N_121bessel_j1_kernel_cudaERNS_18TensorIteratorBaseEENKUlvE_clEvENKUlvE_clEvEUldE_St5arrayIPcLm2EELi4E23TrivialOffsetCalculatorILi1EjESC_NS0_6memory15LoadWithoutCastENSD_16StoreWithoutCastEEEviT_T0_T2_T3_T4_T5_
	.p2align	8
	.type	_ZN2at6native27unrolled_elementwise_kernelIZZZNS0_12_GLOBAL__N_121bessel_j1_kernel_cudaERNS_18TensorIteratorBaseEENKUlvE_clEvENKUlvE_clEvEUldE_St5arrayIPcLm2EELi4E23TrivialOffsetCalculatorILi1EjESC_NS0_6memory15LoadWithoutCastENSD_16StoreWithoutCastEEEviT_T0_T2_T3_T4_T5_,@function
_ZN2at6native27unrolled_elementwise_kernelIZZZNS0_12_GLOBAL__N_121bessel_j1_kernel_cudaERNS_18TensorIteratorBaseEENKUlvE_clEvENKUlvE_clEvEUldE_St5arrayIPcLm2EELi4E23TrivialOffsetCalculatorILi1EjESC_NS0_6memory15LoadWithoutCastENSD_16StoreWithoutCastEEEviT_T0_T2_T3_T4_T5_: ; @_ZN2at6native27unrolled_elementwise_kernelIZZZNS0_12_GLOBAL__N_121bessel_j1_kernel_cudaERNS_18TensorIteratorBaseEENKUlvE_clEvENKUlvE_clEvEUldE_St5arrayIPcLm2EELi4E23TrivialOffsetCalculatorILi1EjESC_NS0_6memory15LoadWithoutCastENSD_16StoreWithoutCastEEEviT_T0_T2_T3_T4_T5_
; %bb.0:
	s_add_u32 s0, s0, s7
	s_clause 0x1
	s_load_dword s7, s[4:5], 0x0
	s_load_dwordx4 s[28:31], s[4:5], 0x8
	v_mov_b32_e32 v46, v0
	s_addc_u32 s1, s1, 0
	s_lshl_b32 s27, s6, 10
	v_mov_b32_e32 v40, 0
	v_mov_b32_e32 v0, 0
	;; [unrolled: 1-line block ×4, first 2 shown]
	v_or_b32_e32 v72, s27, v46
	v_or_b32_e32 v47, 0x100, v46
	v_mov_b32_e32 v2, v46
	s_mov_b32 s32, 0
	s_waitcnt lgkmcnt(0)
	s_sub_i32 s33, s7, s27
	v_cmp_gt_i32_e64 s26, s33, v46
	s_and_saveexec_b32 s4, s26
	s_cbranch_execz .LBB5_2
; %bb.1:
	v_mov_b32_e32 v73, 0
	v_or_b32_e32 v2, 0x100, v46
	v_lshlrev_b64 v[0:1], 3, v[72:73]
	v_add_co_u32 v0, vcc_lo, s30, v0
	v_add_co_ci_u32_e64 v1, null, s31, v1, vcc_lo
	global_load_dwordx2 v[0:1], v[0:1], off
.LBB5_2:
	s_or_b32 exec_lo, exec_lo, s4
	s_mov_b32 s4, exec_lo
	v_cmpx_gt_i32_e64 s33, v2
	s_cbranch_execz .LBB5_4
; %bb.3:
	v_add_nc_u32_e32 v3, s27, v2
	v_mov_b32_e32 v4, 0
	v_add_nc_u32_e32 v2, 0x100, v2
	v_lshlrev_b64 v[3:4], 3, v[3:4]
	v_add_co_u32 v3, vcc_lo, s30, v3
	v_add_co_ci_u32_e64 v4, null, s31, v4, vcc_lo
	global_load_dwordx2 v[40:41], v[3:4], off
.LBB5_4:
	s_or_b32 exec_lo, exec_lo, s4
	v_mov_b32_e32 v42, 0
	v_mov_b32_e32 v44, 0
	;; [unrolled: 1-line block ×4, first 2 shown]
	s_mov_b32 s4, exec_lo
	v_cmpx_gt_i32_e64 s33, v2
	s_cbranch_execz .LBB5_6
; %bb.5:
	v_add_nc_u32_e32 v3, s27, v2
	v_mov_b32_e32 v4, 0
	v_add_nc_u32_e32 v2, 0x100, v2
	v_lshlrev_b64 v[3:4], 3, v[3:4]
	v_add_co_u32 v3, vcc_lo, s30, v3
	v_add_co_ci_u32_e64 v4, null, s31, v4, vcc_lo
	global_load_dwordx2 v[44:45], v[3:4], off
.LBB5_6:
	s_or_b32 exec_lo, exec_lo, s4
	s_mov_b32 s4, exec_lo
	v_cmpx_gt_i32_e64 s33, v2
	s_cbranch_execz .LBB5_8
; %bb.7:
	v_add_nc_u32_e32 v2, s27, v2
	v_mov_b32_e32 v3, 0
	v_lshlrev_b64 v[2:3], 3, v[2:3]
	v_add_co_u32 v2, vcc_lo, s30, v2
	v_add_co_ci_u32_e64 v3, null, s31, v3, vcc_lo
	global_load_dwordx2 v[42:43], v[2:3], off
.LBB5_8:
	s_or_b32 exec_lo, exec_lo, s4
	v_mov_b32_e32 v56, 0
	v_mov_b32_e32 v57, v56
	v_mov_b32_e32 v58, v56
	v_mov_b32_e32 v59, v56
	v_mov_b32_e32 v60, v56
	v_mov_b32_e32 v61, v56
	v_mov_b32_e32 v62, v56
	v_mov_b32_e32 v63, v56
	s_and_saveexec_b32 s34, s26
	s_cbranch_execz .LBB5_10
; %bb.9:
	s_getpc_b64 s[4:5]
	s_add_u32 s4, s4, _ZZZZN2at6native12_GLOBAL__N_121bessel_j1_kernel_cudaERNS_18TensorIteratorBaseEENKUlvE_clEvENKUlvE_clEvENKUldE_clEd@rel32@lo+4
	s_addc_u32 s5, s5, _ZZZZN2at6native12_GLOBAL__N_121bessel_j1_kernel_cudaERNS_18TensorIteratorBaseEENKUlvE_clEvENKUlvE_clEvENKUldE_clEd@rel32@hi+12
	s_swappc_b64 s[30:31], s[4:5]
	v_mov_b32_e32 v7, v56
	v_mov_b32_e32 v2, v56
	;; [unrolled: 1-line block ×14, first 2 shown]
.LBB5_10:
	s_or_b32 exec_lo, exec_lo, s34
	s_mov_b32 s34, exec_lo
	v_cmpx_gt_i32_e64 s33, v47
	s_cbranch_execz .LBB5_12
; %bb.11:
	s_waitcnt vmcnt(0)
	v_mov_b32_e32 v0, v40
	v_mov_b32_e32 v1, v41
	s_getpc_b64 s[4:5]
	s_add_u32 s4, s4, _ZZZZN2at6native12_GLOBAL__N_121bessel_j1_kernel_cudaERNS_18TensorIteratorBaseEENKUlvE_clEvENKUlvE_clEvENKUldE_clEd@rel32@lo+4
	s_addc_u32 s5, s5, _ZZZZN2at6native12_GLOBAL__N_121bessel_j1_kernel_cudaERNS_18TensorIteratorBaseEENKUlvE_clEvENKUlvE_clEvENKUldE_clEd@rel32@hi+12
	s_swappc_b64 s[30:31], s[4:5]
	v_mov_b32_e32 v58, v0
	v_mov_b32_e32 v59, v1
.LBB5_12:
	s_or_b32 exec_lo, exec_lo, s34
	s_waitcnt vmcnt(0)
	v_or_b32_e32 v0, 0x200, v46
	s_mov_b32 s34, exec_lo
	v_cmpx_gt_i32_e64 s33, v0
	s_cbranch_execz .LBB5_14
; %bb.13:
	v_mov_b32_e32 v0, v44
	v_mov_b32_e32 v1, v45
	s_getpc_b64 s[4:5]
	s_add_u32 s4, s4, _ZZZZN2at6native12_GLOBAL__N_121bessel_j1_kernel_cudaERNS_18TensorIteratorBaseEENKUlvE_clEvENKUlvE_clEvENKUldE_clEd@rel32@lo+4
	s_addc_u32 s5, s5, _ZZZZN2at6native12_GLOBAL__N_121bessel_j1_kernel_cudaERNS_18TensorIteratorBaseEENKUlvE_clEvENKUlvE_clEvENKUldE_clEd@rel32@hi+12
	s_swappc_b64 s[30:31], s[4:5]
	v_mov_b32_e32 v60, v0
	v_mov_b32_e32 v61, v1
.LBB5_14:
	s_or_b32 exec_lo, exec_lo, s34
	v_or_b32_e32 v0, 0x300, v46
	s_mov_b32 s34, exec_lo
	v_cmpx_gt_i32_e64 s33, v0
	s_cbranch_execnz .LBB5_20
; %bb.15:
	s_or_b32 exec_lo, exec_lo, s34
	s_and_saveexec_b32 s4, s26
	s_xor_b32 s4, exec_lo, s4
	s_cbranch_execnz .LBB5_21
.LBB5_16:
	s_or_b32 exec_lo, exec_lo, s4
	s_mov_b32 s4, exec_lo
	v_cmpx_gt_i32_e64 s33, v46
	s_cbranch_execnz .LBB5_22
.LBB5_17:
	s_or_b32 exec_lo, exec_lo, s4
	s_mov_b32 s4, exec_lo
	v_cmpx_gt_i32_e64 s33, v46
	s_cbranch_execnz .LBB5_23
.LBB5_18:
	s_or_b32 exec_lo, exec_lo, s4
	s_mov_b32 s4, exec_lo
	v_cmpx_gt_i32_e64 s33, v46
	s_cbranch_execnz .LBB5_24
.LBB5_19:
	s_endpgm
.LBB5_20:
	v_mov_b32_e32 v0, v42
	v_mov_b32_e32 v1, v43
	s_getpc_b64 s[4:5]
	s_add_u32 s4, s4, _ZZZZN2at6native12_GLOBAL__N_121bessel_j1_kernel_cudaERNS_18TensorIteratorBaseEENKUlvE_clEvENKUlvE_clEvENKUldE_clEd@rel32@lo+4
	s_addc_u32 s5, s5, _ZZZZN2at6native12_GLOBAL__N_121bessel_j1_kernel_cudaERNS_18TensorIteratorBaseEENKUlvE_clEvENKUlvE_clEvENKUldE_clEd@rel32@hi+12
	s_swappc_b64 s[30:31], s[4:5]
	v_mov_b32_e32 v62, v0
	v_mov_b32_e32 v63, v1
	s_or_b32 exec_lo, exec_lo, s34
	s_and_saveexec_b32 s4, s26
	s_xor_b32 s4, exec_lo, s4
	s_cbranch_execz .LBB5_16
.LBB5_21:
	v_mov_b32_e32 v73, 0
	v_mov_b32_e32 v46, v47
	v_lshlrev_b64 v[0:1], 3, v[72:73]
	v_add_co_u32 v0, vcc_lo, s28, v0
	v_add_co_ci_u32_e64 v1, null, s29, v1, vcc_lo
	global_store_dwordx2 v[0:1], v[56:57], off
	s_or_b32 exec_lo, exec_lo, s4
	s_mov_b32 s4, exec_lo
	v_cmpx_gt_i32_e64 s33, v46
	s_cbranch_execz .LBB5_17
.LBB5_22:
	v_add_nc_u32_e32 v0, s27, v46
	v_mov_b32_e32 v1, 0
	v_add_nc_u32_e32 v46, 0x100, v46
	v_lshlrev_b64 v[0:1], 3, v[0:1]
	v_add_co_u32 v0, vcc_lo, s28, v0
	v_add_co_ci_u32_e64 v1, null, s29, v1, vcc_lo
	global_store_dwordx2 v[0:1], v[58:59], off
	s_or_b32 exec_lo, exec_lo, s4
	s_mov_b32 s4, exec_lo
	v_cmpx_gt_i32_e64 s33, v46
	s_cbranch_execz .LBB5_18
.LBB5_23:
	v_add_nc_u32_e32 v0, s27, v46
	v_mov_b32_e32 v1, 0
	v_add_nc_u32_e32 v46, 0x100, v46
	v_lshlrev_b64 v[0:1], 3, v[0:1]
	v_add_co_u32 v0, vcc_lo, s28, v0
	v_add_co_ci_u32_e64 v1, null, s29, v1, vcc_lo
	global_store_dwordx2 v[0:1], v[60:61], off
	s_or_b32 exec_lo, exec_lo, s4
	s_mov_b32 s4, exec_lo
	v_cmpx_gt_i32_e64 s33, v46
	s_cbranch_execz .LBB5_19
.LBB5_24:
	v_add_nc_u32_e32 v0, s27, v46
	v_mov_b32_e32 v1, 0
	v_lshlrev_b64 v[0:1], 3, v[0:1]
	v_add_co_u32 v0, vcc_lo, s28, v0
	v_add_co_ci_u32_e64 v1, null, s29, v1, vcc_lo
	global_store_dwordx2 v[0:1], v[62:63], off
	s_endpgm
	.section	.rodata,"a",@progbits
	.p2align	6, 0x0
	.amdhsa_kernel _ZN2at6native27unrolled_elementwise_kernelIZZZNS0_12_GLOBAL__N_121bessel_j1_kernel_cudaERNS_18TensorIteratorBaseEENKUlvE_clEvENKUlvE_clEvEUldE_St5arrayIPcLm2EELi4E23TrivialOffsetCalculatorILi1EjESC_NS0_6memory15LoadWithoutCastENSD_16StoreWithoutCastEEEviT_T0_T2_T3_T4_T5_
		.amdhsa_group_segment_fixed_size 0
		.amdhsa_private_segment_fixed_size 0
		.amdhsa_kernarg_size 28
		.amdhsa_user_sgpr_count 6
		.amdhsa_user_sgpr_private_segment_buffer 1
		.amdhsa_user_sgpr_dispatch_ptr 0
		.amdhsa_user_sgpr_queue_ptr 0
		.amdhsa_user_sgpr_kernarg_segment_ptr 1
		.amdhsa_user_sgpr_dispatch_id 0
		.amdhsa_user_sgpr_flat_scratch_init 0
		.amdhsa_user_sgpr_private_segment_size 0
		.amdhsa_wavefront_size32 1
		.amdhsa_uses_dynamic_stack 0
		.amdhsa_system_sgpr_private_segment_wavefront_offset 0
		.amdhsa_system_sgpr_workgroup_id_x 1
		.amdhsa_system_sgpr_workgroup_id_y 0
		.amdhsa_system_sgpr_workgroup_id_z 0
		.amdhsa_system_sgpr_workgroup_info 0
		.amdhsa_system_vgpr_workitem_id 0
		.amdhsa_next_free_vgpr 84
		.amdhsa_next_free_sgpr 35
		.amdhsa_reserve_vcc 1
		.amdhsa_reserve_flat_scratch 0
		.amdhsa_float_round_mode_32 0
		.amdhsa_float_round_mode_16_64 0
		.amdhsa_float_denorm_mode_32 3
		.amdhsa_float_denorm_mode_16_64 3
		.amdhsa_dx10_clamp 1
		.amdhsa_ieee_mode 1
		.amdhsa_fp16_overflow 0
		.amdhsa_workgroup_processor_mode 1
		.amdhsa_memory_ordered 1
		.amdhsa_forward_progress 1
		.amdhsa_shared_vgpr_count 0
		.amdhsa_exception_fp_ieee_invalid_op 0
		.amdhsa_exception_fp_denorm_src 0
		.amdhsa_exception_fp_ieee_div_zero 0
		.amdhsa_exception_fp_ieee_overflow 0
		.amdhsa_exception_fp_ieee_underflow 0
		.amdhsa_exception_fp_ieee_inexact 0
		.amdhsa_exception_int_div_zero 0
	.end_amdhsa_kernel
	.section	.text._ZN2at6native27unrolled_elementwise_kernelIZZZNS0_12_GLOBAL__N_121bessel_j1_kernel_cudaERNS_18TensorIteratorBaseEENKUlvE_clEvENKUlvE_clEvEUldE_St5arrayIPcLm2EELi4E23TrivialOffsetCalculatorILi1EjESC_NS0_6memory15LoadWithoutCastENSD_16StoreWithoutCastEEEviT_T0_T2_T3_T4_T5_,"axG",@progbits,_ZN2at6native27unrolled_elementwise_kernelIZZZNS0_12_GLOBAL__N_121bessel_j1_kernel_cudaERNS_18TensorIteratorBaseEENKUlvE_clEvENKUlvE_clEvEUldE_St5arrayIPcLm2EELi4E23TrivialOffsetCalculatorILi1EjESC_NS0_6memory15LoadWithoutCastENSD_16StoreWithoutCastEEEviT_T0_T2_T3_T4_T5_,comdat
.Lfunc_end5:
	.size	_ZN2at6native27unrolled_elementwise_kernelIZZZNS0_12_GLOBAL__N_121bessel_j1_kernel_cudaERNS_18TensorIteratorBaseEENKUlvE_clEvENKUlvE_clEvEUldE_St5arrayIPcLm2EELi4E23TrivialOffsetCalculatorILi1EjESC_NS0_6memory15LoadWithoutCastENSD_16StoreWithoutCastEEEviT_T0_T2_T3_T4_T5_, .Lfunc_end5-_ZN2at6native27unrolled_elementwise_kernelIZZZNS0_12_GLOBAL__N_121bessel_j1_kernel_cudaERNS_18TensorIteratorBaseEENKUlvE_clEvENKUlvE_clEvEUldE_St5arrayIPcLm2EELi4E23TrivialOffsetCalculatorILi1EjESC_NS0_6memory15LoadWithoutCastENSD_16StoreWithoutCastEEEviT_T0_T2_T3_T4_T5_
                                        ; -- End function
	.set _ZN2at6native27unrolled_elementwise_kernelIZZZNS0_12_GLOBAL__N_121bessel_j1_kernel_cudaERNS_18TensorIteratorBaseEENKUlvE_clEvENKUlvE_clEvEUldE_St5arrayIPcLm2EELi4E23TrivialOffsetCalculatorILi1EjESC_NS0_6memory15LoadWithoutCastENSD_16StoreWithoutCastEEEviT_T0_T2_T3_T4_T5_.num_vgpr, max(74, .L_ZZZZN2at6native12_GLOBAL__N_121bessel_j1_kernel_cudaERNS_18TensorIteratorBaseEENKUlvE_clEvENKUlvE_clEvENKUldE_clEd.num_vgpr)
	.set _ZN2at6native27unrolled_elementwise_kernelIZZZNS0_12_GLOBAL__N_121bessel_j1_kernel_cudaERNS_18TensorIteratorBaseEENKUlvE_clEvENKUlvE_clEvEUldE_St5arrayIPcLm2EELi4E23TrivialOffsetCalculatorILi1EjESC_NS0_6memory15LoadWithoutCastENSD_16StoreWithoutCastEEEviT_T0_T2_T3_T4_T5_.num_agpr, max(0, .L_ZZZZN2at6native12_GLOBAL__N_121bessel_j1_kernel_cudaERNS_18TensorIteratorBaseEENKUlvE_clEvENKUlvE_clEvENKUldE_clEd.num_agpr)
	.set _ZN2at6native27unrolled_elementwise_kernelIZZZNS0_12_GLOBAL__N_121bessel_j1_kernel_cudaERNS_18TensorIteratorBaseEENKUlvE_clEvENKUlvE_clEvEUldE_St5arrayIPcLm2EELi4E23TrivialOffsetCalculatorILi1EjESC_NS0_6memory15LoadWithoutCastENSD_16StoreWithoutCastEEEviT_T0_T2_T3_T4_T5_.numbered_sgpr, max(35, .L_ZZZZN2at6native12_GLOBAL__N_121bessel_j1_kernel_cudaERNS_18TensorIteratorBaseEENKUlvE_clEvENKUlvE_clEvENKUldE_clEd.numbered_sgpr)
	.set _ZN2at6native27unrolled_elementwise_kernelIZZZNS0_12_GLOBAL__N_121bessel_j1_kernel_cudaERNS_18TensorIteratorBaseEENKUlvE_clEvENKUlvE_clEvEUldE_St5arrayIPcLm2EELi4E23TrivialOffsetCalculatorILi1EjESC_NS0_6memory15LoadWithoutCastENSD_16StoreWithoutCastEEEviT_T0_T2_T3_T4_T5_.num_named_barrier, max(0, .L_ZZZZN2at6native12_GLOBAL__N_121bessel_j1_kernel_cudaERNS_18TensorIteratorBaseEENKUlvE_clEvENKUlvE_clEvENKUldE_clEd.num_named_barrier)
	.set _ZN2at6native27unrolled_elementwise_kernelIZZZNS0_12_GLOBAL__N_121bessel_j1_kernel_cudaERNS_18TensorIteratorBaseEENKUlvE_clEvENKUlvE_clEvEUldE_St5arrayIPcLm2EELi4E23TrivialOffsetCalculatorILi1EjESC_NS0_6memory15LoadWithoutCastENSD_16StoreWithoutCastEEEviT_T0_T2_T3_T4_T5_.private_seg_size, 0+max(.L_ZZZZN2at6native12_GLOBAL__N_121bessel_j1_kernel_cudaERNS_18TensorIteratorBaseEENKUlvE_clEvENKUlvE_clEvENKUldE_clEd.private_seg_size)
	.set _ZN2at6native27unrolled_elementwise_kernelIZZZNS0_12_GLOBAL__N_121bessel_j1_kernel_cudaERNS_18TensorIteratorBaseEENKUlvE_clEvENKUlvE_clEvEUldE_St5arrayIPcLm2EELi4E23TrivialOffsetCalculatorILi1EjESC_NS0_6memory15LoadWithoutCastENSD_16StoreWithoutCastEEEviT_T0_T2_T3_T4_T5_.uses_vcc, or(1, .L_ZZZZN2at6native12_GLOBAL__N_121bessel_j1_kernel_cudaERNS_18TensorIteratorBaseEENKUlvE_clEvENKUlvE_clEvENKUldE_clEd.uses_vcc)
	.set _ZN2at6native27unrolled_elementwise_kernelIZZZNS0_12_GLOBAL__N_121bessel_j1_kernel_cudaERNS_18TensorIteratorBaseEENKUlvE_clEvENKUlvE_clEvEUldE_St5arrayIPcLm2EELi4E23TrivialOffsetCalculatorILi1EjESC_NS0_6memory15LoadWithoutCastENSD_16StoreWithoutCastEEEviT_T0_T2_T3_T4_T5_.uses_flat_scratch, or(0, .L_ZZZZN2at6native12_GLOBAL__N_121bessel_j1_kernel_cudaERNS_18TensorIteratorBaseEENKUlvE_clEvENKUlvE_clEvENKUldE_clEd.uses_flat_scratch)
	.set _ZN2at6native27unrolled_elementwise_kernelIZZZNS0_12_GLOBAL__N_121bessel_j1_kernel_cudaERNS_18TensorIteratorBaseEENKUlvE_clEvENKUlvE_clEvEUldE_St5arrayIPcLm2EELi4E23TrivialOffsetCalculatorILi1EjESC_NS0_6memory15LoadWithoutCastENSD_16StoreWithoutCastEEEviT_T0_T2_T3_T4_T5_.has_dyn_sized_stack, or(0, .L_ZZZZN2at6native12_GLOBAL__N_121bessel_j1_kernel_cudaERNS_18TensorIteratorBaseEENKUlvE_clEvENKUlvE_clEvENKUldE_clEd.has_dyn_sized_stack)
	.set _ZN2at6native27unrolled_elementwise_kernelIZZZNS0_12_GLOBAL__N_121bessel_j1_kernel_cudaERNS_18TensorIteratorBaseEENKUlvE_clEvENKUlvE_clEvEUldE_St5arrayIPcLm2EELi4E23TrivialOffsetCalculatorILi1EjESC_NS0_6memory15LoadWithoutCastENSD_16StoreWithoutCastEEEviT_T0_T2_T3_T4_T5_.has_recursion, or(0, .L_ZZZZN2at6native12_GLOBAL__N_121bessel_j1_kernel_cudaERNS_18TensorIteratorBaseEENKUlvE_clEvENKUlvE_clEvENKUldE_clEd.has_recursion)
	.set _ZN2at6native27unrolled_elementwise_kernelIZZZNS0_12_GLOBAL__N_121bessel_j1_kernel_cudaERNS_18TensorIteratorBaseEENKUlvE_clEvENKUlvE_clEvEUldE_St5arrayIPcLm2EELi4E23TrivialOffsetCalculatorILi1EjESC_NS0_6memory15LoadWithoutCastENSD_16StoreWithoutCastEEEviT_T0_T2_T3_T4_T5_.has_indirect_call, or(0, .L_ZZZZN2at6native12_GLOBAL__N_121bessel_j1_kernel_cudaERNS_18TensorIteratorBaseEENKUlvE_clEvENKUlvE_clEvENKUldE_clEd.has_indirect_call)
	.section	.AMDGPU.csdata,"",@progbits
; Kernel info:
; codeLenInByte = 1016
; TotalNumSgprs: 37
; NumVgprs: 84
; ScratchSize: 0
; MemoryBound: 0
; FloatMode: 240
; IeeeMode: 1
; LDSByteSize: 0 bytes/workgroup (compile time only)
; SGPRBlocks: 0
; VGPRBlocks: 10
; NumSGPRsForWavesPerEU: 37
; NumVGPRsForWavesPerEU: 84
; Occupancy: 10
; WaveLimiterHint : 0
; COMPUTE_PGM_RSRC2:SCRATCH_EN: 0
; COMPUTE_PGM_RSRC2:USER_SGPR: 6
; COMPUTE_PGM_RSRC2:TRAP_HANDLER: 0
; COMPUTE_PGM_RSRC2:TGID_X_EN: 1
; COMPUTE_PGM_RSRC2:TGID_Y_EN: 0
; COMPUTE_PGM_RSRC2:TGID_Z_EN: 0
; COMPUTE_PGM_RSRC2:TIDIG_COMP_CNT: 0
	.section	.text._ZN2at6native32elementwise_kernel_manual_unrollILi128ELi4EZNS0_22gpu_kernel_impl_nocastIZZZNS0_12_GLOBAL__N_121bessel_j1_kernel_cudaERNS_18TensorIteratorBaseEENKUlvE_clEvENKUlvE_clEvEUldE_EEvS5_RKT_EUlibE_EEviT1_,"axG",@progbits,_ZN2at6native32elementwise_kernel_manual_unrollILi128ELi4EZNS0_22gpu_kernel_impl_nocastIZZZNS0_12_GLOBAL__N_121bessel_j1_kernel_cudaERNS_18TensorIteratorBaseEENKUlvE_clEvENKUlvE_clEvEUldE_EEvS5_RKT_EUlibE_EEviT1_,comdat
	.globl	_ZN2at6native32elementwise_kernel_manual_unrollILi128ELi4EZNS0_22gpu_kernel_impl_nocastIZZZNS0_12_GLOBAL__N_121bessel_j1_kernel_cudaERNS_18TensorIteratorBaseEENKUlvE_clEvENKUlvE_clEvEUldE_EEvS5_RKT_EUlibE_EEviT1_ ; -- Begin function _ZN2at6native32elementwise_kernel_manual_unrollILi128ELi4EZNS0_22gpu_kernel_impl_nocastIZZZNS0_12_GLOBAL__N_121bessel_j1_kernel_cudaERNS_18TensorIteratorBaseEENKUlvE_clEvENKUlvE_clEvEUldE_EEvS5_RKT_EUlibE_EEviT1_
	.p2align	8
	.type	_ZN2at6native32elementwise_kernel_manual_unrollILi128ELi4EZNS0_22gpu_kernel_impl_nocastIZZZNS0_12_GLOBAL__N_121bessel_j1_kernel_cudaERNS_18TensorIteratorBaseEENKUlvE_clEvENKUlvE_clEvEUldE_EEvS5_RKT_EUlibE_EEviT1_,@function
_ZN2at6native32elementwise_kernel_manual_unrollILi128ELi4EZNS0_22gpu_kernel_impl_nocastIZZZNS0_12_GLOBAL__N_121bessel_j1_kernel_cudaERNS_18TensorIteratorBaseEENKUlvE_clEvENKUlvE_clEvEUldE_EEvS5_RKT_EUlibE_EEviT1_: ; @_ZN2at6native32elementwise_kernel_manual_unrollILi128ELi4EZNS0_22gpu_kernel_impl_nocastIZZZNS0_12_GLOBAL__N_121bessel_j1_kernel_cudaERNS_18TensorIteratorBaseEENKUlvE_clEvENKUlvE_clEvEUldE_EEvS5_RKT_EUlibE_EEviT1_
; %bb.0:
	s_clause 0x1
	s_load_dword s33, s[4:5], 0x8
	s_load_dword s52, s[4:5], 0x0
	v_lshl_or_b32 v44, s6, 9, v0
	s_add_u32 s0, s0, s7
	s_addc_u32 s1, s1, 0
	s_add_u32 s26, s4, 8
	s_addc_u32 s27, s5, 0
	v_or_b32_e32 v2, 0x180, v44
	s_mov_b32 s32, 0
	s_mov_b32 s4, exec_lo
	s_waitcnt lgkmcnt(0)
	s_add_i32 s48, s33, -1
	s_cmp_gt_u32 s48, 1
	s_cselect_b32 s49, -1, 0
	v_cmpx_le_i32_e64 s52, v2
	s_xor_b32 s50, exec_lo, s4
	s_cbranch_execz .LBB6_7
; %bb.1:
	s_clause 0x3
	s_load_dwordx4 s[44:47], s[26:27], 0x4
	s_load_dwordx2 s[28:29], s[26:27], 0x14
	s_load_dwordx4 s[40:43], s[26:27], 0xc4
	s_load_dwordx4 s[36:39], s[26:27], 0x148
	s_cmp_lg_u32 s33, 0
	s_mov_b32 s55, exec_lo
	s_cselect_b32 s54, -1, 0
	s_add_u32 s34, s26, 0xc4
	s_addc_u32 s35, s27, 0
	s_min_u32 s53, s48, 15
	s_cmp_gt_u32 s33, 1
	s_cselect_b32 s51, -1, 0
	v_cmpx_gt_i32_e64 s52, v44
	s_cbranch_execz .LBB6_14
; %bb.2:
	s_andn2_b32 vcc_lo, exec_lo, s49
	s_cbranch_vccnz .LBB6_21
; %bb.3:
	s_andn2_b32 vcc_lo, exec_lo, s54
	s_cbranch_vccnz .LBB6_73
; %bb.4:
	s_add_i32 s9, s53, 1
	s_cmp_eq_u32 s48, 2
	s_cbranch_scc1 .LBB6_75
; %bb.5:
	v_mov_b32_e32 v0, 0
	v_mov_b32_e32 v40, 0
	;; [unrolled: 1-line block ×3, first 2 shown]
	s_and_b32 s8, s9, 28
	s_mov_b32 s10, 0
	s_mov_b64 s[4:5], s[26:27]
	s_mov_b64 s[6:7], s[34:35]
.LBB6_6:                                ; =>This Inner Loop Header: Depth=1
	s_clause 0x1
	s_load_dwordx8 s[12:19], s[4:5], 0x4
	s_load_dwordx4 s[20:23], s[4:5], 0x24
	s_load_dwordx8 s[56:63], s[6:7], 0x0
	s_add_u32 s4, s4, 48
	s_addc_u32 s5, s5, 0
	s_add_i32 s10, s10, 4
	s_add_u32 s6, s6, 32
	s_addc_u32 s7, s7, 0
	s_cmp_lg_u32 s8, s10
	s_waitcnt lgkmcnt(0)
	v_mul_hi_u32 v2, s13, v1
	v_add_nc_u32_e32 v2, v1, v2
	v_lshrrev_b32_e32 v2, s14, v2
	v_mul_hi_u32 v3, s16, v2
	v_mul_lo_u32 v5, v2, s12
	v_add_nc_u32_e32 v3, v2, v3
	v_sub_nc_u32_e32 v1, v1, v5
	v_lshrrev_b32_e32 v3, s17, v3
	v_mul_lo_u32 v5, v1, s56
	v_mul_lo_u32 v7, v1, s57
	v_mul_hi_u32 v4, s19, v3
	v_add_nc_u32_e32 v4, v3, v4
	v_lshrrev_b32_e32 v4, s20, v4
	v_mul_hi_u32 v6, s22, v4
	v_mul_lo_u32 v8, v4, s18
	v_add_nc_u32_e32 v1, v4, v6
	v_mul_lo_u32 v6, v3, s15
	v_sub_nc_u32_e32 v3, v3, v8
	v_lshrrev_b32_e32 v1, s23, v1
	v_mul_lo_u32 v8, v3, s60
	v_mul_lo_u32 v3, v3, s61
	v_sub_nc_u32_e32 v2, v2, v6
	v_mul_lo_u32 v9, v1, s21
	v_mul_lo_u32 v6, v2, s58
	;; [unrolled: 1-line block ×3, first 2 shown]
	v_sub_nc_u32_e32 v4, v4, v9
	v_add3_u32 v5, v5, v40, v6
	v_mul_lo_u32 v9, v4, s62
	v_mul_lo_u32 v4, v4, s63
	v_add3_u32 v0, v7, v0, v2
	v_add3_u32 v40, v8, v5, v9
	v_add3_u32 v0, v3, v0, v4
	s_cbranch_scc1 .LBB6_6
	s_branch .LBB6_76
.LBB6_7:
	s_andn2_saveexec_b32 s4, s50
	s_cbranch_execz .LBB6_101
.LBB6_8:
	v_cndmask_b32_e64 v3, 0, 1, s49
	s_andn2_b32 vcc_lo, exec_lo, s49
	s_cbranch_vccnz .LBB6_20
; %bb.9:
	s_cmp_lg_u32 s33, 0
	s_mov_b32 s8, 0
	s_cbranch_scc0 .LBB6_23
; %bb.10:
	s_min_u32 s10, s48, 15
	s_add_i32 s10, s10, 1
	s_cmp_eq_u32 s48, 2
	s_cbranch_scc1 .LBB6_24
; %bb.11:
	v_mov_b32_e32 v0, 0
	v_mov_b32_e32 v46, 0
	;; [unrolled: 1-line block ×3, first 2 shown]
	s_and_b32 s9, s10, 28
	s_add_u32 s4, s26, 0xc4
	s_addc_u32 s5, s27, 0
	s_mov_b32 s11, 0
	s_mov_b64 s[6:7], s[26:27]
.LBB6_12:                               ; =>This Inner Loop Header: Depth=1
	s_clause 0x1
	s_load_dwordx8 s[12:19], s[6:7], 0x4
	s_load_dwordx4 s[20:23], s[6:7], 0x24
	s_waitcnt lgkmcnt(0)
	s_load_dwordx8 s[36:43], s[4:5], 0x0
	s_add_u32 s6, s6, 48
	s_addc_u32 s7, s7, 0
	s_add_i32 s11, s11, 4
	s_add_u32 s4, s4, 32
	s_addc_u32 s5, s5, 0
	s_cmp_lg_u32 s9, s11
	v_mul_hi_u32 v4, s13, v1
	v_add_nc_u32_e32 v4, v1, v4
	v_lshrrev_b32_e32 v4, s14, v4
	v_mul_hi_u32 v5, s16, v4
	v_mul_lo_u32 v7, v4, s12
	v_add_nc_u32_e32 v5, v4, v5
	v_sub_nc_u32_e32 v1, v1, v7
	v_lshrrev_b32_e32 v5, s17, v5
	s_waitcnt lgkmcnt(0)
	v_mul_lo_u32 v7, v1, s36
	v_mul_lo_u32 v9, v1, s37
	v_mul_hi_u32 v6, s19, v5
	v_add_nc_u32_e32 v6, v5, v6
	v_lshrrev_b32_e32 v6, s20, v6
	v_mul_hi_u32 v8, s22, v6
	v_mul_lo_u32 v10, v6, s18
	v_add_nc_u32_e32 v1, v6, v8
	v_mul_lo_u32 v8, v5, s15
	v_sub_nc_u32_e32 v5, v5, v10
	v_lshrrev_b32_e32 v1, s23, v1
	v_mul_lo_u32 v10, v5, s40
	v_mul_lo_u32 v5, v5, s41
	v_sub_nc_u32_e32 v4, v4, v8
	v_mul_lo_u32 v11, v1, s21
	v_mul_lo_u32 v8, v4, s38
	;; [unrolled: 1-line block ×3, first 2 shown]
	v_sub_nc_u32_e32 v6, v6, v11
	v_add3_u32 v7, v7, v46, v8
	v_mul_lo_u32 v11, v6, s42
	v_mul_lo_u32 v6, v6, s43
	v_add3_u32 v0, v9, v0, v4
	v_add3_u32 v46, v10, v7, v11
	;; [unrolled: 1-line block ×3, first 2 shown]
	s_cbranch_scc1 .LBB6_12
; %bb.13:
	s_and_b32 s10, s10, 3
	s_cmp_eq_u32 s10, 0
	s_cbranch_scc0 .LBB6_25
	s_branch .LBB6_27
.LBB6_14:
	s_or_b32 exec_lo, exec_lo, s55
	s_mov_b32 s55, exec_lo
	v_cmpx_gt_i32_e64 s52, v44
	s_cbranch_execz .LBB6_83
.LBB6_15:
	s_andn2_b32 vcc_lo, exec_lo, s49
	s_cbranch_vccnz .LBB6_22
; %bb.16:
	s_andn2_b32 vcc_lo, exec_lo, s54
	s_cbranch_vccnz .LBB6_74
; %bb.17:
	s_add_i32 s9, s53, 1
	s_cmp_eq_u32 s48, 2
	s_cbranch_scc1 .LBB6_91
; %bb.18:
	v_mov_b32_e32 v0, 0
	v_mov_b32_e32 v40, 0
	v_mov_b32_e32 v1, v44
	s_and_b32 s8, s9, 28
	s_mov_b32 s10, 0
	s_mov_b64 s[4:5], s[26:27]
	s_mov_b64 s[6:7], s[34:35]
.LBB6_19:                               ; =>This Inner Loop Header: Depth=1
	s_clause 0x1
	s_load_dwordx8 s[12:19], s[4:5], 0x4
	s_load_dwordx4 s[20:23], s[4:5], 0x24
	s_load_dwordx8 s[56:63], s[6:7], 0x0
	s_add_u32 s4, s4, 48
	s_addc_u32 s5, s5, 0
	s_add_i32 s10, s10, 4
	s_add_u32 s6, s6, 32
	s_addc_u32 s7, s7, 0
	s_cmp_eq_u32 s8, s10
	s_waitcnt lgkmcnt(0)
	v_mul_hi_u32 v2, s13, v1
	v_add_nc_u32_e32 v2, v1, v2
	v_lshrrev_b32_e32 v2, s14, v2
	v_mul_hi_u32 v3, s16, v2
	v_mul_lo_u32 v5, v2, s12
	v_add_nc_u32_e32 v3, v2, v3
	v_sub_nc_u32_e32 v1, v1, v5
	v_lshrrev_b32_e32 v3, s17, v3
	v_mul_lo_u32 v5, v1, s56
	v_mul_lo_u32 v7, v1, s57
	v_mul_hi_u32 v4, s19, v3
	v_add_nc_u32_e32 v4, v3, v4
	v_lshrrev_b32_e32 v4, s20, v4
	v_mul_hi_u32 v6, s22, v4
	v_mul_lo_u32 v8, v4, s18
	v_add_nc_u32_e32 v1, v4, v6
	v_mul_lo_u32 v6, v3, s15
	v_sub_nc_u32_e32 v3, v3, v8
	v_lshrrev_b32_e32 v1, s23, v1
	v_mul_lo_u32 v8, v3, s60
	v_mul_lo_u32 v3, v3, s61
	v_sub_nc_u32_e32 v2, v2, v6
	v_mul_lo_u32 v9, v1, s21
	v_mul_lo_u32 v6, v2, s58
	;; [unrolled: 1-line block ×3, first 2 shown]
	v_sub_nc_u32_e32 v4, v4, v9
	v_add3_u32 v5, v5, v40, v6
	v_mul_lo_u32 v9, v4, s62
	v_mul_lo_u32 v4, v4, s63
	v_add3_u32 v0, v7, v0, v2
	v_add3_u32 v40, v8, v5, v9
	;; [unrolled: 1-line block ×3, first 2 shown]
	s_cbranch_scc0 .LBB6_19
	s_branch .LBB6_92
.LBB6_20:
	s_mov_b32 s8, -1
                                        ; implicit-def: $vgpr46
                                        ; implicit-def: $vgpr0
	s_branch .LBB6_27
.LBB6_21:
                                        ; implicit-def: $vgpr40
                                        ; implicit-def: $vgpr0
	s_branch .LBB6_80
.LBB6_22:
                                        ; implicit-def: $vgpr40
                                        ; implicit-def: $vgpr0
	s_branch .LBB6_96
.LBB6_23:
	v_mov_b32_e32 v46, 0
	v_mov_b32_e32 v0, 0
	s_branch .LBB6_27
.LBB6_24:
	v_mov_b32_e32 v46, 0
	v_mov_b32_e32 v0, 0
	;; [unrolled: 1-line block ×3, first 2 shown]
	s_mov_b32 s9, 0
	s_and_b32 s10, s10, 3
	s_cmp_eq_u32 s10, 0
	s_cbranch_scc1 .LBB6_27
.LBB6_25:
	s_lshl_b32 s4, s9, 3
	s_mul_i32 s6, s9, 12
	s_add_u32 s4, s26, s4
	s_addc_u32 s5, s27, 0
	s_add_u32 s4, s4, 0xc4
	s_addc_u32 s5, s5, 0
	;; [unrolled: 2-line block ×3, first 2 shown]
	.p2align	6
.LBB6_26:                               ; =>This Inner Loop Header: Depth=1
	s_clause 0x1
	s_load_dwordx2 s[12:13], s[6:7], 0x4
	s_load_dword s9, s[6:7], 0xc
	s_load_dwordx2 s[14:15], s[4:5], 0x0
	s_add_u32 s6, s6, 12
	s_addc_u32 s7, s7, 0
	s_add_u32 s4, s4, 8
	s_addc_u32 s5, s5, 0
	s_add_i32 s10, s10, -1
	s_cmp_lg_u32 s10, 0
	s_waitcnt lgkmcnt(0)
	v_mul_hi_u32 v4, s13, v1
	v_add_nc_u32_e32 v4, v1, v4
	v_lshrrev_b32_e32 v4, s9, v4
	v_mul_lo_u32 v5, v4, s12
	v_sub_nc_u32_e32 v1, v1, v5
	v_mad_u64_u32 v[46:47], null, v1, s14, v[46:47]
	v_mad_u64_u32 v[0:1], null, v1, s15, v[0:1]
	v_mov_b32_e32 v1, v4
	s_cbranch_scc1 .LBB6_26
.LBB6_27:
	s_andn2_b32 vcc_lo, exec_lo, s8
	s_cbranch_vccnz .LBB6_30
; %bb.28:
	s_clause 0x1
	s_load_dwordx4 s[4:7], s[26:27], 0x4
	s_load_dwordx2 s[8:9], s[26:27], 0xc4
	s_cmp_lt_u32 s33, 2
	s_waitcnt lgkmcnt(0)
	v_mul_hi_u32 v0, s5, v44
	v_add_nc_u32_e32 v0, v44, v0
	v_lshrrev_b32_e32 v1, s6, v0
	v_mul_lo_u32 v0, v1, s4
	v_sub_nc_u32_e32 v0, v44, v0
	v_mul_lo_u32 v46, v0, s8
	v_mul_lo_u32 v0, v0, s9
	s_cbranch_scc1 .LBB6_30
; %bb.29:
	s_clause 0x1
	s_load_dwordx4 s[4:7], s[26:27], 0x10
	s_load_dwordx2 s[8:9], s[26:27], 0xcc
	s_waitcnt lgkmcnt(0)
	v_mul_hi_u32 v4, s5, v1
	v_add_nc_u32_e32 v4, v1, v4
	v_lshrrev_b32_e32 v4, s6, v4
	v_mul_lo_u32 v4, v4, s4
	v_sub_nc_u32_e32 v1, v1, v4
	v_mad_u64_u32 v[46:47], null, v1, s8, v[46:47]
	v_mad_u64_u32 v[0:1], null, v1, s9, v[0:1]
.LBB6_30:
	v_cmp_ne_u32_e32 vcc_lo, 1, v3
	v_add_nc_u32_e32 v1, 0x80, v44
	s_cbranch_vccnz .LBB6_36
; %bb.31:
	s_cmp_lg_u32 s33, 0
	s_mov_b32 s8, 0
	s_cbranch_scc0 .LBB6_37
; %bb.32:
	s_min_u32 s10, s48, 15
	s_add_i32 s10, s10, 1
	s_cmp_eq_u32 s48, 2
	s_cbranch_scc1 .LBB6_38
; %bb.33:
	v_mov_b32_e32 v42, 0
	v_mov_b32_e32 v56, 0
	;; [unrolled: 1-line block ×3, first 2 shown]
	s_and_b32 s9, s10, 28
	s_add_u32 s4, s26, 0xc4
	s_addc_u32 s5, s27, 0
	s_mov_b32 s11, 0
	s_mov_b64 s[6:7], s[26:27]
.LBB6_34:                               ; =>This Inner Loop Header: Depth=1
	s_clause 0x1
	s_load_dwordx8 s[12:19], s[6:7], 0x4
	s_load_dwordx4 s[20:23], s[6:7], 0x24
	s_waitcnt lgkmcnt(0)
	s_load_dwordx8 s[36:43], s[4:5], 0x0
	s_add_u32 s6, s6, 48
	s_addc_u32 s7, s7, 0
	s_add_i32 s11, s11, 4
	s_add_u32 s4, s4, 32
	s_addc_u32 s5, s5, 0
	s_cmp_lg_u32 s9, s11
	v_mul_hi_u32 v5, s13, v4
	v_add_nc_u32_e32 v5, v4, v5
	v_lshrrev_b32_e32 v5, s14, v5
	v_mul_hi_u32 v6, s16, v5
	v_mul_lo_u32 v8, v5, s12
	v_add_nc_u32_e32 v6, v5, v6
	v_sub_nc_u32_e32 v4, v4, v8
	v_lshrrev_b32_e32 v6, s17, v6
	s_waitcnt lgkmcnt(0)
	v_mul_lo_u32 v8, v4, s36
	v_mul_lo_u32 v10, v4, s37
	v_mul_hi_u32 v7, s19, v6
	v_add_nc_u32_e32 v7, v6, v7
	v_lshrrev_b32_e32 v7, s20, v7
	v_mul_hi_u32 v9, s22, v7
	v_mul_lo_u32 v11, v7, s18
	v_add_nc_u32_e32 v4, v7, v9
	v_mul_lo_u32 v9, v6, s15
	v_sub_nc_u32_e32 v6, v6, v11
	v_lshrrev_b32_e32 v4, s23, v4
	v_mul_lo_u32 v11, v6, s40
	v_mul_lo_u32 v6, v6, s41
	v_sub_nc_u32_e32 v5, v5, v9
	v_mul_lo_u32 v12, v4, s21
	v_mul_lo_u32 v9, v5, s38
	;; [unrolled: 1-line block ×3, first 2 shown]
	v_sub_nc_u32_e32 v7, v7, v12
	v_add3_u32 v8, v8, v56, v9
	v_mul_lo_u32 v12, v7, s42
	v_mul_lo_u32 v7, v7, s43
	v_add3_u32 v5, v10, v42, v5
	v_add3_u32 v56, v11, v8, v12
	;; [unrolled: 1-line block ×3, first 2 shown]
	s_cbranch_scc1 .LBB6_34
; %bb.35:
	s_and_b32 s10, s10, 3
	s_cmp_eq_u32 s10, 0
	s_cbranch_scc0 .LBB6_39
	s_branch .LBB6_41
.LBB6_36:
	s_mov_b32 s8, -1
                                        ; implicit-def: $vgpr56
                                        ; implicit-def: $vgpr42
	s_branch .LBB6_41
.LBB6_37:
	v_mov_b32_e32 v56, 0
	v_mov_b32_e32 v42, 0
	s_branch .LBB6_41
.LBB6_38:
	v_mov_b32_e32 v56, 0
	v_mov_b32_e32 v42, 0
	;; [unrolled: 1-line block ×3, first 2 shown]
	s_mov_b32 s9, 0
	s_and_b32 s10, s10, 3
	s_cmp_eq_u32 s10, 0
	s_cbranch_scc1 .LBB6_41
.LBB6_39:
	s_lshl_b32 s4, s9, 3
	s_mul_i32 s6, s9, 12
	s_add_u32 s4, s26, s4
	s_addc_u32 s5, s27, 0
	s_add_u32 s4, s4, 0xc4
	s_addc_u32 s5, s5, 0
	;; [unrolled: 2-line block ×3, first 2 shown]
	.p2align	6
.LBB6_40:                               ; =>This Inner Loop Header: Depth=1
	s_clause 0x1
	s_load_dwordx2 s[12:13], s[6:7], 0x4
	s_load_dword s9, s[6:7], 0xc
	s_load_dwordx2 s[14:15], s[4:5], 0x0
	s_add_u32 s6, s6, 12
	s_addc_u32 s7, s7, 0
	s_add_u32 s4, s4, 8
	s_addc_u32 s5, s5, 0
	s_add_i32 s10, s10, -1
	s_cmp_lg_u32 s10, 0
	s_waitcnt lgkmcnt(0)
	v_mul_hi_u32 v5, s13, v4
	v_add_nc_u32_e32 v5, v4, v5
	v_lshrrev_b32_e32 v5, s9, v5
	v_mul_lo_u32 v6, v5, s12
	v_sub_nc_u32_e32 v4, v4, v6
	v_mad_u64_u32 v[56:57], null, v4, s14, v[56:57]
	v_mad_u64_u32 v[42:43], null, v4, s15, v[42:43]
	v_mov_b32_e32 v4, v5
	s_cbranch_scc1 .LBB6_40
.LBB6_41:
	s_andn2_b32 vcc_lo, exec_lo, s8
	s_cbranch_vccnz .LBB6_44
; %bb.42:
	s_clause 0x1
	s_load_dwordx4 s[4:7], s[26:27], 0x4
	s_load_dwordx2 s[8:9], s[26:27], 0xc4
	s_cmp_lt_u32 s33, 2
	s_waitcnt lgkmcnt(0)
	v_mul_hi_u32 v4, s5, v1
	v_add_nc_u32_e32 v4, v1, v4
	v_lshrrev_b32_e32 v4, s6, v4
	v_mul_lo_u32 v5, v4, s4
	v_sub_nc_u32_e32 v1, v1, v5
	v_mul_lo_u32 v56, v1, s8
	v_mul_lo_u32 v42, v1, s9
	s_cbranch_scc1 .LBB6_44
; %bb.43:
	s_clause 0x1
	s_load_dwordx4 s[4:7], s[26:27], 0x10
	s_load_dwordx2 s[8:9], s[26:27], 0xcc
	s_waitcnt lgkmcnt(0)
	v_mul_hi_u32 v1, s5, v4
	v_add_nc_u32_e32 v1, v4, v1
	v_lshrrev_b32_e32 v1, s6, v1
	v_mul_lo_u32 v1, v1, s4
	v_sub_nc_u32_e32 v1, v4, v1
	v_mad_u64_u32 v[56:57], null, v1, s8, v[56:57]
	v_mad_u64_u32 v[42:43], null, v1, s9, v[42:43]
.LBB6_44:
	v_cmp_ne_u32_e32 vcc_lo, 1, v3
	v_add_nc_u32_e32 v1, 0x100, v44
	s_cbranch_vccnz .LBB6_50
; %bb.45:
	s_cmp_lg_u32 s33, 0
	s_mov_b32 s8, 0
	s_cbranch_scc0 .LBB6_51
; %bb.46:
	s_min_u32 s10, s48, 15
	s_add_i32 s10, s10, 1
	s_cmp_eq_u32 s48, 2
	s_cbranch_scc1 .LBB6_52
; %bb.47:
	v_mov_b32_e32 v44, 0
	v_mov_b32_e32 v57, 0
	;; [unrolled: 1-line block ×3, first 2 shown]
	s_and_b32 s9, s10, 28
	s_add_u32 s4, s26, 0xc4
	s_addc_u32 s5, s27, 0
	s_mov_b32 s11, 0
	s_mov_b64 s[6:7], s[26:27]
.LBB6_48:                               ; =>This Inner Loop Header: Depth=1
	s_clause 0x1
	s_load_dwordx8 s[12:19], s[6:7], 0x4
	s_load_dwordx4 s[20:23], s[6:7], 0x24
	s_waitcnt lgkmcnt(0)
	s_load_dwordx8 s[36:43], s[4:5], 0x0
	s_add_u32 s6, s6, 48
	s_addc_u32 s7, s7, 0
	s_add_i32 s11, s11, 4
	s_add_u32 s4, s4, 32
	s_addc_u32 s5, s5, 0
	s_cmp_lg_u32 s9, s11
	v_mul_hi_u32 v5, s13, v4
	v_add_nc_u32_e32 v5, v4, v5
	v_lshrrev_b32_e32 v5, s14, v5
	v_mul_hi_u32 v6, s16, v5
	v_mul_lo_u32 v8, v5, s12
	v_add_nc_u32_e32 v6, v5, v6
	v_sub_nc_u32_e32 v4, v4, v8
	v_lshrrev_b32_e32 v6, s17, v6
	s_waitcnt lgkmcnt(0)
	v_mul_lo_u32 v8, v4, s36
	v_mul_lo_u32 v10, v4, s37
	v_mul_hi_u32 v7, s19, v6
	v_add_nc_u32_e32 v7, v6, v7
	v_lshrrev_b32_e32 v7, s20, v7
	v_mul_hi_u32 v9, s22, v7
	v_mul_lo_u32 v11, v7, s18
	v_add_nc_u32_e32 v4, v7, v9
	v_mul_lo_u32 v9, v6, s15
	v_sub_nc_u32_e32 v6, v6, v11
	v_lshrrev_b32_e32 v4, s23, v4
	v_mul_lo_u32 v11, v6, s40
	v_mul_lo_u32 v6, v6, s41
	v_sub_nc_u32_e32 v5, v5, v9
	v_mul_lo_u32 v12, v4, s21
	v_mul_lo_u32 v9, v5, s38
	;; [unrolled: 1-line block ×3, first 2 shown]
	v_sub_nc_u32_e32 v7, v7, v12
	v_add3_u32 v8, v8, v57, v9
	v_mul_lo_u32 v12, v7, s42
	v_mul_lo_u32 v7, v7, s43
	v_add3_u32 v5, v10, v44, v5
	v_add3_u32 v57, v11, v8, v12
	;; [unrolled: 1-line block ×3, first 2 shown]
	s_cbranch_scc1 .LBB6_48
; %bb.49:
	s_and_b32 s10, s10, 3
	s_cmp_eq_u32 s10, 0
	s_cbranch_scc0 .LBB6_53
	s_branch .LBB6_55
.LBB6_50:
	s_mov_b32 s8, -1
                                        ; implicit-def: $vgpr57
                                        ; implicit-def: $vgpr44
	s_branch .LBB6_55
.LBB6_51:
	v_mov_b32_e32 v57, 0
	v_mov_b32_e32 v44, 0
	s_branch .LBB6_55
.LBB6_52:
	v_mov_b32_e32 v57, 0
	v_mov_b32_e32 v44, 0
	;; [unrolled: 1-line block ×3, first 2 shown]
	s_mov_b32 s9, 0
	s_and_b32 s10, s10, 3
	s_cmp_eq_u32 s10, 0
	s_cbranch_scc1 .LBB6_55
.LBB6_53:
	s_lshl_b32 s4, s9, 3
	s_mul_i32 s6, s9, 12
	s_add_u32 s4, s26, s4
	s_addc_u32 s5, s27, 0
	s_add_u32 s4, s4, 0xc4
	s_addc_u32 s5, s5, 0
	;; [unrolled: 2-line block ×3, first 2 shown]
	.p2align	6
.LBB6_54:                               ; =>This Inner Loop Header: Depth=1
	s_clause 0x1
	s_load_dwordx2 s[12:13], s[6:7], 0x4
	s_load_dword s9, s[6:7], 0xc
	s_load_dwordx2 s[14:15], s[4:5], 0x0
	s_add_u32 s6, s6, 12
	s_addc_u32 s7, s7, 0
	s_add_u32 s4, s4, 8
	s_addc_u32 s5, s5, 0
	s_add_i32 s10, s10, -1
	s_cmp_lg_u32 s10, 0
	s_waitcnt lgkmcnt(0)
	v_mul_hi_u32 v5, s13, v4
	v_add_nc_u32_e32 v5, v4, v5
	v_lshrrev_b32_e32 v5, s9, v5
	v_mul_lo_u32 v6, v5, s12
	v_sub_nc_u32_e32 v4, v4, v6
	v_mad_u64_u32 v[57:58], null, v4, s14, v[57:58]
	v_mad_u64_u32 v[44:45], null, v4, s15, v[44:45]
	v_mov_b32_e32 v4, v5
	s_cbranch_scc1 .LBB6_54
.LBB6_55:
	s_andn2_b32 vcc_lo, exec_lo, s8
	s_cbranch_vccnz .LBB6_58
; %bb.56:
	s_clause 0x1
	s_load_dwordx4 s[4:7], s[26:27], 0x4
	s_load_dwordx2 s[8:9], s[26:27], 0xc4
	s_cmp_lt_u32 s33, 2
	s_waitcnt lgkmcnt(0)
	v_mul_hi_u32 v4, s5, v1
	v_add_nc_u32_e32 v4, v1, v4
	v_lshrrev_b32_e32 v4, s6, v4
	v_mul_lo_u32 v5, v4, s4
	v_sub_nc_u32_e32 v1, v1, v5
	v_mul_lo_u32 v57, v1, s8
	v_mul_lo_u32 v44, v1, s9
	s_cbranch_scc1 .LBB6_58
; %bb.57:
	s_clause 0x1
	s_load_dwordx4 s[4:7], s[26:27], 0x10
	s_load_dwordx2 s[8:9], s[26:27], 0xcc
	s_waitcnt lgkmcnt(0)
	v_mul_hi_u32 v1, s5, v4
	v_add_nc_u32_e32 v1, v4, v1
	v_lshrrev_b32_e32 v1, s6, v1
	v_mul_lo_u32 v1, v1, s4
	v_sub_nc_u32_e32 v1, v4, v1
	v_mad_u64_u32 v[57:58], null, v1, s8, v[57:58]
	v_mad_u64_u32 v[44:45], null, v1, s9, v[44:45]
.LBB6_58:
	v_cmp_ne_u32_e32 vcc_lo, 1, v3
	s_cbranch_vccnz .LBB6_64
; %bb.59:
	s_cmp_lg_u32 s33, 0
	s_mov_b32 s8, 0
	s_cbranch_scc0 .LBB6_65
; %bb.60:
	s_min_u32 s10, s48, 15
	s_add_i32 s10, s10, 1
	s_cmp_eq_u32 s48, 2
	s_cbranch_scc1 .LBB6_66
; %bb.61:
	v_mov_b32_e32 v60, 0
	v_mov_b32_e32 v58, 0
	;; [unrolled: 1-line block ×3, first 2 shown]
	s_and_b32 s9, s10, 28
	s_add_u32 s4, s26, 0xc4
	s_addc_u32 s5, s27, 0
	s_mov_b32 s11, 0
	s_mov_b64 s[6:7], s[26:27]
.LBB6_62:                               ; =>This Inner Loop Header: Depth=1
	s_clause 0x1
	s_load_dwordx8 s[12:19], s[6:7], 0x4
	s_load_dwordx4 s[20:23], s[6:7], 0x24
	s_waitcnt lgkmcnt(0)
	s_load_dwordx8 s[36:43], s[4:5], 0x0
	s_add_u32 s6, s6, 48
	s_addc_u32 s7, s7, 0
	s_add_i32 s11, s11, 4
	s_add_u32 s4, s4, 32
	s_addc_u32 s5, s5, 0
	s_cmp_lg_u32 s9, s11
	v_mul_hi_u32 v3, s13, v1
	v_add_nc_u32_e32 v3, v1, v3
	v_lshrrev_b32_e32 v3, s14, v3
	v_mul_hi_u32 v4, s16, v3
	v_mul_lo_u32 v6, v3, s12
	v_add_nc_u32_e32 v4, v3, v4
	v_sub_nc_u32_e32 v1, v1, v6
	v_lshrrev_b32_e32 v4, s17, v4
	s_waitcnt lgkmcnt(0)
	v_mul_lo_u32 v6, v1, s36
	v_mul_lo_u32 v8, v1, s37
	v_mul_hi_u32 v5, s19, v4
	v_add_nc_u32_e32 v5, v4, v5
	v_lshrrev_b32_e32 v5, s20, v5
	v_mul_hi_u32 v7, s22, v5
	v_mul_lo_u32 v9, v5, s18
	v_add_nc_u32_e32 v1, v5, v7
	v_mul_lo_u32 v7, v4, s15
	v_sub_nc_u32_e32 v4, v4, v9
	v_lshrrev_b32_e32 v1, s23, v1
	v_mul_lo_u32 v9, v4, s40
	v_mul_lo_u32 v4, v4, s41
	v_sub_nc_u32_e32 v3, v3, v7
	v_mul_lo_u32 v10, v1, s21
	v_mul_lo_u32 v7, v3, s38
	;; [unrolled: 1-line block ×3, first 2 shown]
	v_sub_nc_u32_e32 v5, v5, v10
	v_add3_u32 v6, v6, v58, v7
	v_mul_lo_u32 v10, v5, s42
	v_mul_lo_u32 v5, v5, s43
	v_add3_u32 v3, v8, v60, v3
	v_add3_u32 v58, v9, v6, v10
	;; [unrolled: 1-line block ×3, first 2 shown]
	s_cbranch_scc1 .LBB6_62
; %bb.63:
	s_and_b32 s10, s10, 3
	s_cmp_eq_u32 s10, 0
	s_cbranch_scc0 .LBB6_67
	s_branch .LBB6_69
.LBB6_64:
	s_mov_b32 s8, -1
                                        ; implicit-def: $vgpr58
                                        ; implicit-def: $vgpr60
	s_branch .LBB6_69
.LBB6_65:
	v_mov_b32_e32 v58, 0
	v_mov_b32_e32 v60, 0
	s_branch .LBB6_69
.LBB6_66:
	v_mov_b32_e32 v58, 0
	v_mov_b32_e32 v60, 0
	;; [unrolled: 1-line block ×3, first 2 shown]
	s_mov_b32 s9, 0
	s_and_b32 s10, s10, 3
	s_cmp_eq_u32 s10, 0
	s_cbranch_scc1 .LBB6_69
.LBB6_67:
	s_lshl_b32 s4, s9, 3
	s_mul_i32 s6, s9, 12
	s_add_u32 s4, s26, s4
	s_addc_u32 s5, s27, 0
	s_add_u32 s4, s4, 0xc4
	s_addc_u32 s5, s5, 0
	;; [unrolled: 2-line block ×3, first 2 shown]
	.p2align	6
.LBB6_68:                               ; =>This Inner Loop Header: Depth=1
	s_clause 0x1
	s_load_dwordx2 s[12:13], s[6:7], 0x4
	s_load_dword s9, s[6:7], 0xc
	s_load_dwordx2 s[14:15], s[4:5], 0x0
	s_add_u32 s6, s6, 12
	s_addc_u32 s7, s7, 0
	s_add_u32 s4, s4, 8
	s_addc_u32 s5, s5, 0
	s_add_i32 s10, s10, -1
	s_cmp_lg_u32 s10, 0
	s_waitcnt lgkmcnt(0)
	v_mul_hi_u32 v3, s13, v1
	v_add_nc_u32_e32 v3, v1, v3
	v_lshrrev_b32_e32 v3, s9, v3
	v_mul_lo_u32 v4, v3, s12
	v_sub_nc_u32_e32 v1, v1, v4
	v_mad_u64_u32 v[58:59], null, v1, s14, v[58:59]
	v_mad_u64_u32 v[60:61], null, v1, s15, v[60:61]
	v_mov_b32_e32 v1, v3
	s_cbranch_scc1 .LBB6_68
.LBB6_69:
	s_andn2_b32 vcc_lo, exec_lo, s8
	s_cbranch_vccnz .LBB6_72
; %bb.70:
	s_clause 0x1
	s_load_dwordx4 s[4:7], s[26:27], 0x4
	s_load_dwordx2 s[8:9], s[26:27], 0xc4
	s_cmp_lt_u32 s33, 2
	s_waitcnt lgkmcnt(0)
	v_mul_hi_u32 v1, s5, v2
	v_add_nc_u32_e32 v1, v2, v1
	v_lshrrev_b32_e32 v1, s6, v1
	v_mul_lo_u32 v3, v1, s4
	v_sub_nc_u32_e32 v2, v2, v3
	v_mul_lo_u32 v58, v2, s8
	v_mul_lo_u32 v60, v2, s9
	s_cbranch_scc1 .LBB6_72
; %bb.71:
	s_clause 0x1
	s_load_dwordx4 s[4:7], s[26:27], 0x10
	s_load_dwordx2 s[8:9], s[26:27], 0xcc
	s_waitcnt lgkmcnt(0)
	v_mul_hi_u32 v2, s5, v1
	v_add_nc_u32_e32 v2, v1, v2
	v_lshrrev_b32_e32 v2, s6, v2
	v_mul_lo_u32 v2, v2, s4
	v_sub_nc_u32_e32 v1, v1, v2
	v_mad_u64_u32 v[58:59], null, v1, s8, v[58:59]
	v_mad_u64_u32 v[60:61], null, v1, s9, v[60:61]
.LBB6_72:
	s_waitcnt lgkmcnt(0)
	s_load_dwordx4 s[36:39], s[26:27], 0x148
	s_getpc_b64 s[26:27]
	s_add_u32 s26, s26, _ZZZZN2at6native12_GLOBAL__N_121bessel_j1_kernel_cudaERNS_18TensorIteratorBaseEENKUlvE_clEvENKUlvE_clEvENKUldE_clEd@rel32@lo+4
	s_addc_u32 s27, s27, _ZZZZN2at6native12_GLOBAL__N_121bessel_j1_kernel_cudaERNS_18TensorIteratorBaseEENKUlvE_clEvENKUlvE_clEvENKUldE_clEd@rel32@hi+12
	s_waitcnt lgkmcnt(0)
	global_load_dwordx2 v[0:1], v0, s[38:39]
	s_swappc_b64 s[30:31], s[26:27]
	v_mov_b32_e32 v40, v0
	v_mov_b32_e32 v41, v1
	global_load_dwordx2 v[0:1], v42, s[38:39]
	s_swappc_b64 s[30:31], s[26:27]
	v_mov_b32_e32 v42, v0
	v_mov_b32_e32 v43, v1
	;; [unrolled: 4-line block ×3, first 2 shown]
	global_load_dwordx2 v[0:1], v60, s[38:39]
	s_swappc_b64 s[30:31], s[26:27]
	global_store_dwordx2 v46, v[40:41], s[36:37]
	global_store_dwordx2 v56, v[42:43], s[36:37]
	;; [unrolled: 1-line block ×4, first 2 shown]
	s_endpgm
.LBB6_73:
	v_mov_b32_e32 v40, 0
	v_mov_b32_e32 v0, 0
	s_branch .LBB6_79
.LBB6_74:
	v_mov_b32_e32 v40, 0
	v_mov_b32_e32 v0, 0
	s_branch .LBB6_95
.LBB6_75:
	v_mov_b32_e32 v40, 0
	v_mov_b32_e32 v0, 0
	;; [unrolled: 1-line block ×3, first 2 shown]
	s_mov_b32 s8, 0
.LBB6_76:
	s_and_b32 s9, s9, 3
	s_cmp_eq_u32 s9, 0
	s_cbranch_scc1 .LBB6_79
; %bb.77:
	s_lshl_b32 s4, s8, 3
	s_mul_i32 s6, s8, 12
	s_add_u32 s4, s26, s4
	s_addc_u32 s5, s27, 0
	s_add_u32 s4, s4, 0xc4
	s_addc_u32 s5, s5, 0
	;; [unrolled: 2-line block ×3, first 2 shown]
	.p2align	6
.LBB6_78:                               ; =>This Inner Loop Header: Depth=1
	s_clause 0x1
	s_load_dwordx2 s[10:11], s[6:7], 0x4
	s_load_dword s8, s[6:7], 0xc
	s_load_dwordx2 s[12:13], s[4:5], 0x0
	s_add_u32 s6, s6, 12
	s_addc_u32 s7, s7, 0
	s_add_u32 s4, s4, 8
	s_addc_u32 s5, s5, 0
	s_add_i32 s9, s9, -1
	s_cmp_lg_u32 s9, 0
	s_waitcnt lgkmcnt(0)
	v_mul_hi_u32 v2, s11, v1
	v_add_nc_u32_e32 v2, v1, v2
	v_lshrrev_b32_e32 v2, s8, v2
	v_mul_lo_u32 v3, v2, s10
	v_sub_nc_u32_e32 v1, v1, v3
	v_mad_u64_u32 v[40:41], null, v1, s12, v[40:41]
	v_mad_u64_u32 v[0:1], null, v1, s13, v[0:1]
	v_mov_b32_e32 v1, v2
	s_cbranch_scc1 .LBB6_78
.LBB6_79:
	s_cbranch_execnz .LBB6_82
.LBB6_80:
	s_waitcnt lgkmcnt(0)
	v_mul_hi_u32 v0, s45, v44
	s_andn2_b32 vcc_lo, exec_lo, s51
	v_add_nc_u32_e32 v0, v44, v0
	v_lshrrev_b32_e32 v1, s46, v0
	v_mul_lo_u32 v0, v1, s44
	v_sub_nc_u32_e32 v0, v44, v0
	v_mul_lo_u32 v40, v0, s40
	v_mul_lo_u32 v0, v0, s41
	s_cbranch_vccnz .LBB6_82
; %bb.81:
	v_mul_hi_u32 v2, s28, v1
	v_add_nc_u32_e32 v2, v1, v2
	v_lshrrev_b32_e32 v2, s29, v2
	v_mul_lo_u32 v2, v2, s47
	v_sub_nc_u32_e32 v1, v1, v2
	v_mad_u64_u32 v[40:41], null, v1, s42, v[40:41]
	v_mad_u64_u32 v[0:1], null, v1, s43, v[0:1]
.LBB6_82:
	s_waitcnt lgkmcnt(0)
	global_load_dwordx2 v[0:1], v0, s[38:39]
	s_getpc_b64 s[4:5]
	s_add_u32 s4, s4, _ZZZZN2at6native12_GLOBAL__N_121bessel_j1_kernel_cudaERNS_18TensorIteratorBaseEENKUlvE_clEvENKUlvE_clEvENKUldE_clEd@rel32@lo+4
	s_addc_u32 s5, s5, _ZZZZN2at6native12_GLOBAL__N_121bessel_j1_kernel_cudaERNS_18TensorIteratorBaseEENKUlvE_clEvENKUlvE_clEvENKUldE_clEd@rel32@hi+12
	s_swappc_b64 s[30:31], s[4:5]
	v_add_nc_u32_e32 v44, 0x80, v44
	global_store_dwordx2 v40, v[0:1], s[36:37]
	s_or_b32 exec_lo, exec_lo, s55
	s_mov_b32 s55, exec_lo
	v_cmpx_gt_i32_e64 s52, v44
	s_cbranch_execnz .LBB6_15
.LBB6_83:
	s_or_b32 exec_lo, exec_lo, s55
	s_mov_b32 s55, exec_lo
	v_cmpx_gt_i32_e64 s52, v44
	s_cbranch_execz .LBB6_99
.LBB6_84:
	s_andn2_b32 vcc_lo, exec_lo, s49
	s_cbranch_vccnz .LBB6_89
; %bb.85:
	s_andn2_b32 vcc_lo, exec_lo, s54
	s_cbranch_vccnz .LBB6_90
; %bb.86:
	s_add_i32 s9, s53, 1
	s_cmp_eq_u32 s48, 2
	s_cbranch_scc1 .LBB6_102
; %bb.87:
	v_mov_b32_e32 v0, 0
	v_mov_b32_e32 v40, 0
	;; [unrolled: 1-line block ×3, first 2 shown]
	s_and_b32 s8, s9, 28
	s_mov_b32 s10, 0
	s_mov_b64 s[4:5], s[26:27]
	s_mov_b64 s[6:7], s[34:35]
.LBB6_88:                               ; =>This Inner Loop Header: Depth=1
	s_clause 0x1
	s_load_dwordx8 s[12:19], s[4:5], 0x4
	s_load_dwordx4 s[20:23], s[4:5], 0x24
	s_load_dwordx8 s[56:63], s[6:7], 0x0
	s_add_u32 s4, s4, 48
	s_addc_u32 s5, s5, 0
	s_add_i32 s10, s10, 4
	s_add_u32 s6, s6, 32
	s_addc_u32 s7, s7, 0
	s_cmp_eq_u32 s8, s10
	s_waitcnt lgkmcnt(0)
	v_mul_hi_u32 v2, s13, v1
	v_add_nc_u32_e32 v2, v1, v2
	v_lshrrev_b32_e32 v2, s14, v2
	v_mul_hi_u32 v3, s16, v2
	v_mul_lo_u32 v5, v2, s12
	v_add_nc_u32_e32 v3, v2, v3
	v_sub_nc_u32_e32 v1, v1, v5
	v_lshrrev_b32_e32 v3, s17, v3
	v_mul_lo_u32 v5, v1, s56
	v_mul_lo_u32 v7, v1, s57
	v_mul_hi_u32 v4, s19, v3
	v_add_nc_u32_e32 v4, v3, v4
	v_lshrrev_b32_e32 v4, s20, v4
	v_mul_hi_u32 v6, s22, v4
	v_mul_lo_u32 v8, v4, s18
	v_add_nc_u32_e32 v1, v4, v6
	v_mul_lo_u32 v6, v3, s15
	v_sub_nc_u32_e32 v3, v3, v8
	v_lshrrev_b32_e32 v1, s23, v1
	v_mul_lo_u32 v8, v3, s60
	v_mul_lo_u32 v3, v3, s61
	v_sub_nc_u32_e32 v2, v2, v6
	v_mul_lo_u32 v9, v1, s21
	v_mul_lo_u32 v6, v2, s58
	;; [unrolled: 1-line block ×3, first 2 shown]
	v_sub_nc_u32_e32 v4, v4, v9
	v_add3_u32 v5, v5, v40, v6
	v_mul_lo_u32 v9, v4, s62
	v_mul_lo_u32 v4, v4, s63
	v_add3_u32 v0, v7, v0, v2
	v_add3_u32 v40, v8, v5, v9
	;; [unrolled: 1-line block ×3, first 2 shown]
	s_cbranch_scc0 .LBB6_88
	s_branch .LBB6_103
.LBB6_89:
                                        ; implicit-def: $vgpr40
                                        ; implicit-def: $vgpr0
	s_branch .LBB6_107
.LBB6_90:
	v_mov_b32_e32 v40, 0
	v_mov_b32_e32 v0, 0
	s_branch .LBB6_106
.LBB6_91:
	v_mov_b32_e32 v40, 0
	v_mov_b32_e32 v0, 0
	;; [unrolled: 1-line block ×3, first 2 shown]
	s_mov_b32 s8, 0
.LBB6_92:
	s_and_b32 s9, s9, 3
	s_cmp_eq_u32 s9, 0
	s_cbranch_scc1 .LBB6_95
; %bb.93:
	s_lshl_b32 s4, s8, 3
	s_mul_i32 s6, s8, 12
	s_add_u32 s4, s26, s4
	s_addc_u32 s5, s27, 0
	s_add_u32 s4, s4, 0xc4
	s_addc_u32 s5, s5, 0
	;; [unrolled: 2-line block ×3, first 2 shown]
	.p2align	6
.LBB6_94:                               ; =>This Inner Loop Header: Depth=1
	s_clause 0x1
	s_load_dwordx2 s[10:11], s[6:7], 0x4
	s_load_dword s8, s[6:7], 0xc
	s_load_dwordx2 s[12:13], s[4:5], 0x0
	s_add_u32 s6, s6, 12
	s_addc_u32 s7, s7, 0
	s_add_u32 s4, s4, 8
	s_addc_u32 s5, s5, 0
	s_add_i32 s9, s9, -1
	s_cmp_lg_u32 s9, 0
	s_waitcnt lgkmcnt(0)
	v_mul_hi_u32 v2, s11, v1
	v_add_nc_u32_e32 v2, v1, v2
	v_lshrrev_b32_e32 v2, s8, v2
	v_mul_lo_u32 v3, v2, s10
	v_sub_nc_u32_e32 v1, v1, v3
	v_mad_u64_u32 v[40:41], null, v1, s12, v[40:41]
	v_mad_u64_u32 v[0:1], null, v1, s13, v[0:1]
	v_mov_b32_e32 v1, v2
	s_cbranch_scc1 .LBB6_94
.LBB6_95:
	s_cbranch_execnz .LBB6_98
.LBB6_96:
	s_waitcnt lgkmcnt(0)
	v_mul_hi_u32 v0, s45, v44
	s_andn2_b32 vcc_lo, exec_lo, s51
	v_add_nc_u32_e32 v0, v44, v0
	v_lshrrev_b32_e32 v1, s46, v0
	v_mul_lo_u32 v0, v1, s44
	v_sub_nc_u32_e32 v0, v44, v0
	v_mul_lo_u32 v40, v0, s40
	v_mul_lo_u32 v0, v0, s41
	s_cbranch_vccnz .LBB6_98
; %bb.97:
	v_mul_hi_u32 v2, s28, v1
	v_add_nc_u32_e32 v2, v1, v2
	v_lshrrev_b32_e32 v2, s29, v2
	v_mul_lo_u32 v2, v2, s47
	v_sub_nc_u32_e32 v1, v1, v2
	v_mad_u64_u32 v[40:41], null, v1, s42, v[40:41]
	v_mad_u64_u32 v[0:1], null, v1, s43, v[0:1]
.LBB6_98:
	s_waitcnt lgkmcnt(0)
	global_load_dwordx2 v[0:1], v0, s[38:39]
	s_getpc_b64 s[4:5]
	s_add_u32 s4, s4, _ZZZZN2at6native12_GLOBAL__N_121bessel_j1_kernel_cudaERNS_18TensorIteratorBaseEENKUlvE_clEvENKUlvE_clEvENKUldE_clEd@rel32@lo+4
	s_addc_u32 s5, s5, _ZZZZN2at6native12_GLOBAL__N_121bessel_j1_kernel_cudaERNS_18TensorIteratorBaseEENKUlvE_clEvENKUlvE_clEvENKUldE_clEd@rel32@hi+12
	s_swappc_b64 s[30:31], s[4:5]
	v_add_nc_u32_e32 v44, 0x80, v44
	global_store_dwordx2 v40, v[0:1], s[36:37]
	s_or_b32 exec_lo, exec_lo, s55
	s_mov_b32 s55, exec_lo
	v_cmpx_gt_i32_e64 s52, v44
	s_cbranch_execnz .LBB6_84
.LBB6_99:
	s_or_b32 exec_lo, exec_lo, s55
	v_cmp_gt_i32_e32 vcc_lo, s52, v44
	s_and_saveexec_b32 s52, vcc_lo
	s_cbranch_execnz .LBB6_110
.LBB6_100:
	s_or_b32 exec_lo, exec_lo, s52
                                        ; implicit-def: $vgpr2
                                        ; implicit-def: $vgpr44
	s_andn2_saveexec_b32 s4, s50
	s_cbranch_execnz .LBB6_8
.LBB6_101:
	s_endpgm
.LBB6_102:
	v_mov_b32_e32 v40, 0
	v_mov_b32_e32 v0, 0
	;; [unrolled: 1-line block ×3, first 2 shown]
	s_mov_b32 s8, 0
.LBB6_103:
	s_and_b32 s9, s9, 3
	s_cmp_eq_u32 s9, 0
	s_cbranch_scc1 .LBB6_106
; %bb.104:
	s_lshl_b32 s4, s8, 3
	s_mul_i32 s6, s8, 12
	s_add_u32 s4, s26, s4
	s_addc_u32 s5, s27, 0
	s_add_u32 s4, s4, 0xc4
	s_addc_u32 s5, s5, 0
	;; [unrolled: 2-line block ×3, first 2 shown]
	.p2align	6
.LBB6_105:                              ; =>This Inner Loop Header: Depth=1
	s_clause 0x1
	s_load_dwordx2 s[10:11], s[6:7], 0x4
	s_load_dword s8, s[6:7], 0xc
	s_load_dwordx2 s[12:13], s[4:5], 0x0
	s_add_u32 s6, s6, 12
	s_addc_u32 s7, s7, 0
	s_add_u32 s4, s4, 8
	s_addc_u32 s5, s5, 0
	s_add_i32 s9, s9, -1
	s_cmp_lg_u32 s9, 0
	s_waitcnt lgkmcnt(0)
	v_mul_hi_u32 v2, s11, v1
	v_add_nc_u32_e32 v2, v1, v2
	v_lshrrev_b32_e32 v2, s8, v2
	v_mul_lo_u32 v3, v2, s10
	v_sub_nc_u32_e32 v1, v1, v3
	v_mad_u64_u32 v[40:41], null, v1, s12, v[40:41]
	v_mad_u64_u32 v[0:1], null, v1, s13, v[0:1]
	v_mov_b32_e32 v1, v2
	s_cbranch_scc1 .LBB6_105
.LBB6_106:
	s_cbranch_execnz .LBB6_109
.LBB6_107:
	s_waitcnt lgkmcnt(0)
	v_mul_hi_u32 v0, s45, v44
	s_andn2_b32 vcc_lo, exec_lo, s51
	v_add_nc_u32_e32 v0, v44, v0
	v_lshrrev_b32_e32 v1, s46, v0
	v_mul_lo_u32 v0, v1, s44
	v_sub_nc_u32_e32 v0, v44, v0
	v_mul_lo_u32 v40, v0, s40
	v_mul_lo_u32 v0, v0, s41
	s_cbranch_vccnz .LBB6_109
; %bb.108:
	v_mul_hi_u32 v2, s28, v1
	v_add_nc_u32_e32 v2, v1, v2
	v_lshrrev_b32_e32 v2, s29, v2
	v_mul_lo_u32 v2, v2, s47
	v_sub_nc_u32_e32 v1, v1, v2
	v_mad_u64_u32 v[40:41], null, v1, s42, v[40:41]
	v_mad_u64_u32 v[0:1], null, v1, s43, v[0:1]
.LBB6_109:
	s_waitcnt lgkmcnt(0)
	global_load_dwordx2 v[0:1], v0, s[38:39]
	s_getpc_b64 s[4:5]
	s_add_u32 s4, s4, _ZZZZN2at6native12_GLOBAL__N_121bessel_j1_kernel_cudaERNS_18TensorIteratorBaseEENKUlvE_clEvENKUlvE_clEvENKUldE_clEd@rel32@lo+4
	s_addc_u32 s5, s5, _ZZZZN2at6native12_GLOBAL__N_121bessel_j1_kernel_cudaERNS_18TensorIteratorBaseEENKUlvE_clEvENKUlvE_clEvENKUldE_clEd@rel32@hi+12
	s_swappc_b64 s[30:31], s[4:5]
	v_add_nc_u32_e32 v44, 0x80, v44
	global_store_dwordx2 v40, v[0:1], s[36:37]
	s_or_b32 exec_lo, exec_lo, s55
	v_cmp_gt_i32_e32 vcc_lo, s52, v44
	s_and_saveexec_b32 s52, vcc_lo
	s_cbranch_execz .LBB6_100
.LBB6_110:
	s_andn2_b32 vcc_lo, exec_lo, s49
	s_cbranch_vccnz .LBB6_115
; %bb.111:
	s_andn2_b32 vcc_lo, exec_lo, s54
	s_cbranch_vccnz .LBB6_116
; %bb.112:
	s_add_i32 s53, s53, 1
	s_cmp_eq_u32 s48, 2
	s_cbranch_scc1 .LBB6_117
; %bb.113:
	v_mov_b32_e32 v0, 0
	v_mov_b32_e32 v40, 0
	;; [unrolled: 1-line block ×3, first 2 shown]
	s_and_b32 s6, s53, 28
	s_mov_b32 s7, 0
	s_mov_b64 s[4:5], s[26:27]
.LBB6_114:                              ; =>This Inner Loop Header: Depth=1
	s_clause 0x1
	s_load_dwordx8 s[8:15], s[4:5], 0x4
	s_load_dwordx4 s[56:59], s[4:5], 0x24
	s_load_dwordx8 s[16:23], s[34:35], 0x0
	s_add_u32 s4, s4, 48
	s_addc_u32 s5, s5, 0
	s_add_i32 s7, s7, 4
	s_add_u32 s34, s34, 32
	s_addc_u32 s35, s35, 0
	s_cmp_eq_u32 s6, s7
	s_waitcnt lgkmcnt(0)
	v_mul_hi_u32 v2, s9, v1
	v_add_nc_u32_e32 v2, v1, v2
	v_lshrrev_b32_e32 v2, s10, v2
	v_mul_hi_u32 v3, s12, v2
	v_mul_lo_u32 v5, v2, s8
	v_add_nc_u32_e32 v3, v2, v3
	v_sub_nc_u32_e32 v1, v1, v5
	v_lshrrev_b32_e32 v3, s13, v3
	v_mul_lo_u32 v5, v1, s16
	v_mul_lo_u32 v7, v1, s17
	v_mul_hi_u32 v4, s15, v3
	v_add_nc_u32_e32 v4, v3, v4
	v_lshrrev_b32_e32 v4, s56, v4
	v_mul_hi_u32 v6, s58, v4
	v_mul_lo_u32 v8, v4, s14
	v_add_nc_u32_e32 v1, v4, v6
	v_mul_lo_u32 v6, v3, s11
	v_sub_nc_u32_e32 v3, v3, v8
	v_lshrrev_b32_e32 v1, s59, v1
	v_mul_lo_u32 v8, v3, s20
	v_mul_lo_u32 v3, v3, s21
	v_sub_nc_u32_e32 v2, v2, v6
	v_mul_lo_u32 v9, v1, s57
	v_mul_lo_u32 v6, v2, s18
	;; [unrolled: 1-line block ×3, first 2 shown]
	v_sub_nc_u32_e32 v4, v4, v9
	v_add3_u32 v5, v5, v40, v6
	v_mul_lo_u32 v9, v4, s22
	v_mul_lo_u32 v4, v4, s23
	v_add3_u32 v0, v7, v0, v2
	v_add3_u32 v40, v8, v5, v9
	;; [unrolled: 1-line block ×3, first 2 shown]
	s_cbranch_scc0 .LBB6_114
	s_branch .LBB6_118
.LBB6_115:
                                        ; implicit-def: $vgpr40
                                        ; implicit-def: $vgpr0
	s_branch .LBB6_122
.LBB6_116:
	v_mov_b32_e32 v40, 0
	v_mov_b32_e32 v0, 0
	s_branch .LBB6_121
.LBB6_117:
	v_mov_b32_e32 v40, 0
	v_mov_b32_e32 v0, 0
	v_mov_b32_e32 v1, v44
	s_mov_b32 s6, 0
.LBB6_118:
	s_and_b32 s8, s53, 3
	s_cmp_eq_u32 s8, 0
	s_cbranch_scc1 .LBB6_121
; %bb.119:
	s_lshl_b32 s4, s6, 3
	s_mul_i32 s6, s6, 12
	s_add_u32 s4, s26, s4
	s_addc_u32 s5, s27, 0
	s_add_u32 s4, s4, 0xc4
	s_addc_u32 s5, s5, 0
	;; [unrolled: 2-line block ×3, first 2 shown]
	.p2align	6
.LBB6_120:                              ; =>This Inner Loop Header: Depth=1
	s_clause 0x1
	s_load_dwordx2 s[10:11], s[6:7], 0x4
	s_load_dword s9, s[6:7], 0xc
	s_load_dwordx2 s[12:13], s[4:5], 0x0
	s_add_u32 s6, s6, 12
	s_addc_u32 s7, s7, 0
	s_add_u32 s4, s4, 8
	s_addc_u32 s5, s5, 0
	s_add_i32 s8, s8, -1
	s_cmp_lg_u32 s8, 0
	s_waitcnt lgkmcnt(0)
	v_mul_hi_u32 v2, s11, v1
	v_add_nc_u32_e32 v2, v1, v2
	v_lshrrev_b32_e32 v2, s9, v2
	v_mul_lo_u32 v3, v2, s10
	v_sub_nc_u32_e32 v1, v1, v3
	v_mad_u64_u32 v[40:41], null, v1, s12, v[40:41]
	v_mad_u64_u32 v[0:1], null, v1, s13, v[0:1]
	v_mov_b32_e32 v1, v2
	s_cbranch_scc1 .LBB6_120
.LBB6_121:
	s_cbranch_execnz .LBB6_124
.LBB6_122:
	s_waitcnt lgkmcnt(0)
	v_mul_hi_u32 v0, s45, v44
	s_andn2_b32 vcc_lo, exec_lo, s51
	v_add_nc_u32_e32 v0, v44, v0
	v_lshrrev_b32_e32 v1, s46, v0
	v_mul_lo_u32 v0, v1, s44
	v_sub_nc_u32_e32 v0, v44, v0
	v_mul_lo_u32 v40, v0, s40
	v_mul_lo_u32 v0, v0, s41
	s_cbranch_vccnz .LBB6_124
; %bb.123:
	v_mul_hi_u32 v2, s28, v1
	v_add_nc_u32_e32 v2, v1, v2
	v_lshrrev_b32_e32 v2, s29, v2
	v_mul_lo_u32 v2, v2, s47
	v_sub_nc_u32_e32 v1, v1, v2
	v_mad_u64_u32 v[40:41], null, v1, s42, v[40:41]
	v_mad_u64_u32 v[0:1], null, v1, s43, v[0:1]
.LBB6_124:
	s_waitcnt lgkmcnt(0)
	global_load_dwordx2 v[0:1], v0, s[38:39]
	s_getpc_b64 s[4:5]
	s_add_u32 s4, s4, _ZZZZN2at6native12_GLOBAL__N_121bessel_j1_kernel_cudaERNS_18TensorIteratorBaseEENKUlvE_clEvENKUlvE_clEvENKUldE_clEd@rel32@lo+4
	s_addc_u32 s5, s5, _ZZZZN2at6native12_GLOBAL__N_121bessel_j1_kernel_cudaERNS_18TensorIteratorBaseEENKUlvE_clEvENKUlvE_clEvENKUldE_clEd@rel32@hi+12
	s_swappc_b64 s[30:31], s[4:5]
	global_store_dwordx2 v40, v[0:1], s[36:37]
	s_or_b32 exec_lo, exec_lo, s52
                                        ; implicit-def: $vgpr2
                                        ; implicit-def: $vgpr44
	s_andn2_saveexec_b32 s4, s50
	s_cbranch_execz .LBB6_101
	s_branch .LBB6_8
	.section	.rodata,"a",@progbits
	.p2align	6, 0x0
	.amdhsa_kernel _ZN2at6native32elementwise_kernel_manual_unrollILi128ELi4EZNS0_22gpu_kernel_impl_nocastIZZZNS0_12_GLOBAL__N_121bessel_j1_kernel_cudaERNS_18TensorIteratorBaseEENKUlvE_clEvENKUlvE_clEvEUldE_EEvS5_RKT_EUlibE_EEviT1_
		.amdhsa_group_segment_fixed_size 0
		.amdhsa_private_segment_fixed_size 0
		.amdhsa_kernarg_size 360
		.amdhsa_user_sgpr_count 6
		.amdhsa_user_sgpr_private_segment_buffer 1
		.amdhsa_user_sgpr_dispatch_ptr 0
		.amdhsa_user_sgpr_queue_ptr 0
		.amdhsa_user_sgpr_kernarg_segment_ptr 1
		.amdhsa_user_sgpr_dispatch_id 0
		.amdhsa_user_sgpr_flat_scratch_init 0
		.amdhsa_user_sgpr_private_segment_size 0
		.amdhsa_wavefront_size32 1
		.amdhsa_uses_dynamic_stack 0
		.amdhsa_system_sgpr_private_segment_wavefront_offset 0
		.amdhsa_system_sgpr_workgroup_id_x 1
		.amdhsa_system_sgpr_workgroup_id_y 0
		.amdhsa_system_sgpr_workgroup_id_z 0
		.amdhsa_system_sgpr_workgroup_info 0
		.amdhsa_system_vgpr_workitem_id 0
		.amdhsa_next_free_vgpr 84
		.amdhsa_next_free_sgpr 64
		.amdhsa_reserve_vcc 1
		.amdhsa_reserve_flat_scratch 0
		.amdhsa_float_round_mode_32 0
		.amdhsa_float_round_mode_16_64 0
		.amdhsa_float_denorm_mode_32 3
		.amdhsa_float_denorm_mode_16_64 3
		.amdhsa_dx10_clamp 1
		.amdhsa_ieee_mode 1
		.amdhsa_fp16_overflow 0
		.amdhsa_workgroup_processor_mode 1
		.amdhsa_memory_ordered 1
		.amdhsa_forward_progress 1
		.amdhsa_shared_vgpr_count 0
		.amdhsa_exception_fp_ieee_invalid_op 0
		.amdhsa_exception_fp_denorm_src 0
		.amdhsa_exception_fp_ieee_div_zero 0
		.amdhsa_exception_fp_ieee_overflow 0
		.amdhsa_exception_fp_ieee_underflow 0
		.amdhsa_exception_fp_ieee_inexact 0
		.amdhsa_exception_int_div_zero 0
	.end_amdhsa_kernel
	.section	.text._ZN2at6native32elementwise_kernel_manual_unrollILi128ELi4EZNS0_22gpu_kernel_impl_nocastIZZZNS0_12_GLOBAL__N_121bessel_j1_kernel_cudaERNS_18TensorIteratorBaseEENKUlvE_clEvENKUlvE_clEvEUldE_EEvS5_RKT_EUlibE_EEviT1_,"axG",@progbits,_ZN2at6native32elementwise_kernel_manual_unrollILi128ELi4EZNS0_22gpu_kernel_impl_nocastIZZZNS0_12_GLOBAL__N_121bessel_j1_kernel_cudaERNS_18TensorIteratorBaseEENKUlvE_clEvENKUlvE_clEvEUldE_EEvS5_RKT_EUlibE_EEviT1_,comdat
.Lfunc_end6:
	.size	_ZN2at6native32elementwise_kernel_manual_unrollILi128ELi4EZNS0_22gpu_kernel_impl_nocastIZZZNS0_12_GLOBAL__N_121bessel_j1_kernel_cudaERNS_18TensorIteratorBaseEENKUlvE_clEvENKUlvE_clEvEUldE_EEvS5_RKT_EUlibE_EEviT1_, .Lfunc_end6-_ZN2at6native32elementwise_kernel_manual_unrollILi128ELi4EZNS0_22gpu_kernel_impl_nocastIZZZNS0_12_GLOBAL__N_121bessel_j1_kernel_cudaERNS_18TensorIteratorBaseEENKUlvE_clEvENKUlvE_clEvEUldE_EEvS5_RKT_EUlibE_EEviT1_
                                        ; -- End function
	.set _ZN2at6native32elementwise_kernel_manual_unrollILi128ELi4EZNS0_22gpu_kernel_impl_nocastIZZZNS0_12_GLOBAL__N_121bessel_j1_kernel_cudaERNS_18TensorIteratorBaseEENKUlvE_clEvENKUlvE_clEvEUldE_EEvS5_RKT_EUlibE_EEviT1_.num_vgpr, max(62, .L_ZZZZN2at6native12_GLOBAL__N_121bessel_j1_kernel_cudaERNS_18TensorIteratorBaseEENKUlvE_clEvENKUlvE_clEvENKUldE_clEd.num_vgpr)
	.set _ZN2at6native32elementwise_kernel_manual_unrollILi128ELi4EZNS0_22gpu_kernel_impl_nocastIZZZNS0_12_GLOBAL__N_121bessel_j1_kernel_cudaERNS_18TensorIteratorBaseEENKUlvE_clEvENKUlvE_clEvEUldE_EEvS5_RKT_EUlibE_EEviT1_.num_agpr, max(0, .L_ZZZZN2at6native12_GLOBAL__N_121bessel_j1_kernel_cudaERNS_18TensorIteratorBaseEENKUlvE_clEvENKUlvE_clEvENKUldE_clEd.num_agpr)
	.set _ZN2at6native32elementwise_kernel_manual_unrollILi128ELi4EZNS0_22gpu_kernel_impl_nocastIZZZNS0_12_GLOBAL__N_121bessel_j1_kernel_cudaERNS_18TensorIteratorBaseEENKUlvE_clEvENKUlvE_clEvEUldE_EEvS5_RKT_EUlibE_EEviT1_.numbered_sgpr, max(64, .L_ZZZZN2at6native12_GLOBAL__N_121bessel_j1_kernel_cudaERNS_18TensorIteratorBaseEENKUlvE_clEvENKUlvE_clEvENKUldE_clEd.numbered_sgpr)
	.set _ZN2at6native32elementwise_kernel_manual_unrollILi128ELi4EZNS0_22gpu_kernel_impl_nocastIZZZNS0_12_GLOBAL__N_121bessel_j1_kernel_cudaERNS_18TensorIteratorBaseEENKUlvE_clEvENKUlvE_clEvEUldE_EEvS5_RKT_EUlibE_EEviT1_.num_named_barrier, max(0, .L_ZZZZN2at6native12_GLOBAL__N_121bessel_j1_kernel_cudaERNS_18TensorIteratorBaseEENKUlvE_clEvENKUlvE_clEvENKUldE_clEd.num_named_barrier)
	.set _ZN2at6native32elementwise_kernel_manual_unrollILi128ELi4EZNS0_22gpu_kernel_impl_nocastIZZZNS0_12_GLOBAL__N_121bessel_j1_kernel_cudaERNS_18TensorIteratorBaseEENKUlvE_clEvENKUlvE_clEvEUldE_EEvS5_RKT_EUlibE_EEviT1_.private_seg_size, 0+max(.L_ZZZZN2at6native12_GLOBAL__N_121bessel_j1_kernel_cudaERNS_18TensorIteratorBaseEENKUlvE_clEvENKUlvE_clEvENKUldE_clEd.private_seg_size)
	.set _ZN2at6native32elementwise_kernel_manual_unrollILi128ELi4EZNS0_22gpu_kernel_impl_nocastIZZZNS0_12_GLOBAL__N_121bessel_j1_kernel_cudaERNS_18TensorIteratorBaseEENKUlvE_clEvENKUlvE_clEvEUldE_EEvS5_RKT_EUlibE_EEviT1_.uses_vcc, or(1, .L_ZZZZN2at6native12_GLOBAL__N_121bessel_j1_kernel_cudaERNS_18TensorIteratorBaseEENKUlvE_clEvENKUlvE_clEvENKUldE_clEd.uses_vcc)
	.set _ZN2at6native32elementwise_kernel_manual_unrollILi128ELi4EZNS0_22gpu_kernel_impl_nocastIZZZNS0_12_GLOBAL__N_121bessel_j1_kernel_cudaERNS_18TensorIteratorBaseEENKUlvE_clEvENKUlvE_clEvEUldE_EEvS5_RKT_EUlibE_EEviT1_.uses_flat_scratch, or(0, .L_ZZZZN2at6native12_GLOBAL__N_121bessel_j1_kernel_cudaERNS_18TensorIteratorBaseEENKUlvE_clEvENKUlvE_clEvENKUldE_clEd.uses_flat_scratch)
	.set _ZN2at6native32elementwise_kernel_manual_unrollILi128ELi4EZNS0_22gpu_kernel_impl_nocastIZZZNS0_12_GLOBAL__N_121bessel_j1_kernel_cudaERNS_18TensorIteratorBaseEENKUlvE_clEvENKUlvE_clEvEUldE_EEvS5_RKT_EUlibE_EEviT1_.has_dyn_sized_stack, or(0, .L_ZZZZN2at6native12_GLOBAL__N_121bessel_j1_kernel_cudaERNS_18TensorIteratorBaseEENKUlvE_clEvENKUlvE_clEvENKUldE_clEd.has_dyn_sized_stack)
	.set _ZN2at6native32elementwise_kernel_manual_unrollILi128ELi4EZNS0_22gpu_kernel_impl_nocastIZZZNS0_12_GLOBAL__N_121bessel_j1_kernel_cudaERNS_18TensorIteratorBaseEENKUlvE_clEvENKUlvE_clEvEUldE_EEvS5_RKT_EUlibE_EEviT1_.has_recursion, or(0, .L_ZZZZN2at6native12_GLOBAL__N_121bessel_j1_kernel_cudaERNS_18TensorIteratorBaseEENKUlvE_clEvENKUlvE_clEvENKUldE_clEd.has_recursion)
	.set _ZN2at6native32elementwise_kernel_manual_unrollILi128ELi4EZNS0_22gpu_kernel_impl_nocastIZZZNS0_12_GLOBAL__N_121bessel_j1_kernel_cudaERNS_18TensorIteratorBaseEENKUlvE_clEvENKUlvE_clEvEUldE_EEvS5_RKT_EUlibE_EEviT1_.has_indirect_call, or(0, .L_ZZZZN2at6native12_GLOBAL__N_121bessel_j1_kernel_cudaERNS_18TensorIteratorBaseEENKUlvE_clEvENKUlvE_clEvENKUldE_clEd.has_indirect_call)
	.section	.AMDGPU.csdata,"",@progbits
; Kernel info:
; codeLenInByte = 6224
; TotalNumSgprs: 66
; NumVgprs: 84
; ScratchSize: 0
; MemoryBound: 0
; FloatMode: 240
; IeeeMode: 1
; LDSByteSize: 0 bytes/workgroup (compile time only)
; SGPRBlocks: 0
; VGPRBlocks: 10
; NumSGPRsForWavesPerEU: 66
; NumVGPRsForWavesPerEU: 84
; Occupancy: 10
; WaveLimiterHint : 1
; COMPUTE_PGM_RSRC2:SCRATCH_EN: 0
; COMPUTE_PGM_RSRC2:USER_SGPR: 6
; COMPUTE_PGM_RSRC2:TRAP_HANDLER: 0
; COMPUTE_PGM_RSRC2:TGID_X_EN: 1
; COMPUTE_PGM_RSRC2:TGID_Y_EN: 0
; COMPUTE_PGM_RSRC2:TGID_Z_EN: 0
; COMPUTE_PGM_RSRC2:TIDIG_COMP_CNT: 0
	.section	.text._ZN2at6native32elementwise_kernel_manual_unrollILi128ELi4EZNS0_15gpu_kernel_implIZZZNS0_12_GLOBAL__N_121bessel_j1_kernel_cudaERNS_18TensorIteratorBaseEENKUlvE_clEvENKUlvE_clEvEUldE_EEvS5_RKT_EUlibE_EEviT1_,"axG",@progbits,_ZN2at6native32elementwise_kernel_manual_unrollILi128ELi4EZNS0_15gpu_kernel_implIZZZNS0_12_GLOBAL__N_121bessel_j1_kernel_cudaERNS_18TensorIteratorBaseEENKUlvE_clEvENKUlvE_clEvEUldE_EEvS5_RKT_EUlibE_EEviT1_,comdat
	.globl	_ZN2at6native32elementwise_kernel_manual_unrollILi128ELi4EZNS0_15gpu_kernel_implIZZZNS0_12_GLOBAL__N_121bessel_j1_kernel_cudaERNS_18TensorIteratorBaseEENKUlvE_clEvENKUlvE_clEvEUldE_EEvS5_RKT_EUlibE_EEviT1_ ; -- Begin function _ZN2at6native32elementwise_kernel_manual_unrollILi128ELi4EZNS0_15gpu_kernel_implIZZZNS0_12_GLOBAL__N_121bessel_j1_kernel_cudaERNS_18TensorIteratorBaseEENKUlvE_clEvENKUlvE_clEvEUldE_EEvS5_RKT_EUlibE_EEviT1_
	.p2align	8
	.type	_ZN2at6native32elementwise_kernel_manual_unrollILi128ELi4EZNS0_15gpu_kernel_implIZZZNS0_12_GLOBAL__N_121bessel_j1_kernel_cudaERNS_18TensorIteratorBaseEENKUlvE_clEvENKUlvE_clEvEUldE_EEvS5_RKT_EUlibE_EEviT1_,@function
_ZN2at6native32elementwise_kernel_manual_unrollILi128ELi4EZNS0_15gpu_kernel_implIZZZNS0_12_GLOBAL__N_121bessel_j1_kernel_cudaERNS_18TensorIteratorBaseEENKUlvE_clEvENKUlvE_clEvEUldE_EEvS5_RKT_EUlibE_EEviT1_: ; @_ZN2at6native32elementwise_kernel_manual_unrollILi128ELi4EZNS0_15gpu_kernel_implIZZZNS0_12_GLOBAL__N_121bessel_j1_kernel_cudaERNS_18TensorIteratorBaseEENKUlvE_clEvENKUlvE_clEvEUldE_EEvS5_RKT_EUlibE_EEviT1_
; %bb.0:
	v_mov_b32_e32 v1, 0
	s_clause 0x2
	s_load_dword s40, s[4:5], 0x0
	s_load_dwordx2 s[26:27], s[4:5], 0x18
	s_load_dwordx4 s[36:39], s[4:5], 0x8
	v_lshl_or_b32 v46, s6, 9, v0
	s_add_u32 s0, s0, s7
	s_addc_u32 s1, s1, 0
	global_load_ushort v1, v1, s[4:5] offset:33
	s_mov_b32 s29, 0
	v_or_b32_e32 v0, 0x180, v46
	s_mov_b32 s35, 0
	s_mov_b32 s32, 0
	s_waitcnt vmcnt(0)
	v_readfirstlane_b32 s28, v1
	s_and_b32 s4, 0xffff, s28
	s_lshr_b32 s33, s4, 8
	s_mov_b32 s4, exec_lo
	s_waitcnt lgkmcnt(0)
	v_cmpx_le_i32_e64 s40, v0
	s_xor_b32 s34, exec_lo, s4
	s_cbranch_execz .LBB7_1031
; %bb.1:
	s_mov_b32 s5, -1
	s_mov_b32 s43, 0
	s_mov_b32 s41, 0
	s_mov_b32 s42, exec_lo
	v_cmpx_gt_i32_e64 s40, v46
	s_cbranch_execz .LBB7_252
; %bb.2:
	v_mul_lo_u32 v0, v46, s27
	s_and_b32 s4, 0xffff, s33
	s_cmp_lt_i32 s4, 11
	v_ashrrev_i32_e32 v1, 31, v0
	v_add_co_u32 v2, vcc_lo, s38, v0
	v_add_co_ci_u32_e64 v3, null, s39, v1, vcc_lo
	s_cbranch_scc1 .LBB7_9
; %bb.3:
	s_cmp_gt_i32 s4, 25
	s_cbranch_scc0 .LBB7_18
; %bb.4:
	s_cmp_gt_i32 s4, 28
	s_cbranch_scc0 .LBB7_21
	;; [unrolled: 3-line block ×4, first 2 shown]
; %bb.7:
	s_cmp_eq_u32 s4, 46
	s_mov_b32 s6, 0
	s_cbranch_scc0 .LBB7_27
; %bb.8:
	global_load_dword v0, v[2:3], off
	s_waitcnt vmcnt(0)
	v_lshlrev_b32_e32 v0, 16, v0
	v_cvt_f64_f32_e32 v[0:1], v0
	s_branch .LBB7_29
.LBB7_9:
	s_mov_b32 s5, 0
                                        ; implicit-def: $vgpr0_vgpr1
	s_cbranch_execnz .LBB7_202
.LBB7_10:
	s_andn2_b32 vcc_lo, exec_lo, s5
	s_cbranch_vccnz .LBB7_249
.LBB7_11:
	s_getpc_b64 s[4:5]
	s_add_u32 s4, s4, _ZZZZN2at6native12_GLOBAL__N_121bessel_j1_kernel_cudaERNS_18TensorIteratorBaseEENKUlvE_clEvENKUlvE_clEvENKUldE_clEd@rel32@lo+4
	s_addc_u32 s5, s5, _ZZZZN2at6native12_GLOBAL__N_121bessel_j1_kernel_cudaERNS_18TensorIteratorBaseEENKUlvE_clEvENKUlvE_clEvENKUldE_clEd@rel32@hi+12
	s_swappc_b64 s[30:31], s[4:5]
	v_mul_lo_u32 v2, v46, s26
	s_and_b32 s5, s28, 0xff
	s_cmp_lt_i32 s5, 11
	v_ashrrev_i32_e32 v3, 31, v2
	v_add_co_u32 v4, vcc_lo, s36, v2
	v_add_co_ci_u32_e64 v5, null, s37, v3, vcc_lo
	s_cbranch_scc1 .LBB7_19
; %bb.12:
	s_and_b32 s6, 0xffff, s5
	s_cmp_gt_i32 s6, 25
	s_cbranch_scc0 .LBB7_22
; %bb.13:
	s_cmp_gt_i32 s6, 28
	s_cbranch_scc0 .LBB7_24
; %bb.14:
	;; [unrolled: 3-line block ×4, first 2 shown]
	s_mov_b32 s8, 0
	s_mov_b32 s4, -1
	s_cmp_eq_u32 s6, 46
	s_mov_b32 s7, 0
	s_cbranch_scc0 .LBB7_33
; %bb.17:
	v_cvt_f32_f64_e32 v2, v[0:1]
	s_mov_b32 s7, -1
	s_mov_b32 s4, 0
	v_bfe_u32 v3, v2, 16, 1
	v_cmp_o_f32_e32 vcc_lo, v2, v2
	v_add3_u32 v2, v2, v3, 0x7fff
	v_mov_b32_e32 v3, 0x7fc0
	v_cndmask_b32_sdwa v2, v3, v2, vcc_lo dst_sel:DWORD dst_unused:UNUSED_PAD src0_sel:DWORD src1_sel:WORD_1
	global_store_dword v[4:5], v2, off
	s_branch .LBB7_33
.LBB7_18:
	s_mov_b32 s5, 0
                                        ; implicit-def: $vgpr0_vgpr1
	s_cbranch_execnz .LBB7_169
	s_branch .LBB7_201
.LBB7_19:
	s_mov_b32 s4, 0
	s_mov_b32 s7, 0
	s_cbranch_execnz .LBB7_102
.LBB7_20:
	s_andn2_b32 vcc_lo, exec_lo, s7
	s_cbranch_vccnz .LBB7_250
	s_branch .LBB7_140
.LBB7_21:
	s_mov_b32 s6, -1
	s_mov_b32 s5, 0
                                        ; implicit-def: $vgpr0_vgpr1
	s_branch .LBB7_148
.LBB7_22:
	s_mov_b32 s8, -1
	s_mov_b32 s4, 0
	s_mov_b32 s7, 0
	s_branch .LBB7_60
.LBB7_23:
	s_mov_b32 s6, -1
	s_mov_b32 s5, 0
                                        ; implicit-def: $vgpr0_vgpr1
	s_branch .LBB7_143
.LBB7_24:
	s_mov_b32 s8, -1
	s_mov_b32 s4, 0
	s_mov_b32 s7, 0
	s_branch .LBB7_43
.LBB7_25:
	s_mov_b32 s6, -1
	s_branch .LBB7_28
.LBB7_26:
	s_mov_b32 s8, -1
	s_mov_b32 s4, 0
	s_mov_b32 s7, 0
	s_branch .LBB7_39
.LBB7_27:
	s_mov_b32 s41, -1
.LBB7_28:
	s_mov_b32 s5, 0
                                        ; implicit-def: $vgpr0_vgpr1
.LBB7_29:
	s_and_b32 vcc_lo, exec_lo, s6
	s_cbranch_vccz .LBB7_142
; %bb.30:
	s_cmp_eq_u32 s4, 44
	s_cbranch_scc0 .LBB7_141
; %bb.31:
	global_load_ubyte v4, v[2:3], off
	s_mov_b32 s41, 0
	s_mov_b32 s5, -1
	s_waitcnt vmcnt(0)
	v_lshlrev_b32_e32 v0, 23, v4
	v_cmp_ne_u32_e32 vcc_lo, 0xff, v4
	v_cvt_f64_f32_e32 v[0:1], v0
	v_cndmask_b32_e32 v0, 0x20000000, v0, vcc_lo
	v_cndmask_b32_e32 v1, 0x7ff80000, v1, vcc_lo
	v_cmp_ne_u32_e32 vcc_lo, 0, v4
	v_cndmask_b32_e32 v1, 0x38000000, v1, vcc_lo
	v_cndmask_b32_e32 v0, 0, v0, vcc_lo
	s_branch .LBB7_142
.LBB7_32:
	s_mov_b32 s8, -1
	s_mov_b32 s4, 0
	s_mov_b32 s7, 0
.LBB7_33:
	s_and_b32 vcc_lo, exec_lo, s8
	s_cbranch_vccz .LBB7_38
; %bb.34:
	s_cmp_eq_u32 s6, 44
	s_mov_b32 s4, -1
	s_cbranch_scc0 .LBB7_38
; %bb.35:
	v_cvt_f32_f64_e32 v2, v[0:1]
	v_mov_b32_e32 v3, 0xff
	s_mov_b32 s7, exec_lo
	v_bfe_u32 v6, v2, 23, 8
	v_cmpx_ne_u32_e32 0xff, v6
	s_cbranch_execz .LBB7_37
; %bb.36:
	v_and_b32_e32 v3, 0x400000, v2
	v_and_or_b32 v6, 0x3fffff, v2, v6
	v_lshrrev_b32_e32 v2, 23, v2
	v_cmp_ne_u32_e32 vcc_lo, 0, v3
	v_cmp_ne_u32_e64 s4, 0, v6
	s_and_b32 s4, vcc_lo, s4
	v_cndmask_b32_e64 v3, 0, 1, s4
	v_add_nc_u32_e32 v3, v2, v3
.LBB7_37:
	s_or_b32 exec_lo, exec_lo, s7
	s_mov_b32 s7, -1
	s_mov_b32 s4, 0
	global_store_byte v[4:5], v3, off
.LBB7_38:
	s_mov_b32 s8, 0
.LBB7_39:
	s_and_b32 vcc_lo, exec_lo, s8
	s_cbranch_vccz .LBB7_42
; %bb.40:
	s_cmp_eq_u32 s6, 29
	s_mov_b32 s4, -1
	s_cbranch_scc0 .LBB7_42
; %bb.41:
	v_trunc_f64_e32 v[2:3], v[0:1]
	s_mov_b32 s7, -1
	s_mov_b32 s4, 0
	s_mov_b32 s8, 0
	v_ldexp_f64 v[6:7], v[2:3], 0xffffffe0
	v_floor_f64_e32 v[6:7], v[6:7]
	v_fma_f64 v[2:3], 0xc1f00000, v[6:7], v[2:3]
	v_cvt_u32_f64_e32 v7, v[6:7]
	v_cvt_u32_f64_e32 v6, v[2:3]
	global_store_dwordx2 v[4:5], v[6:7], off
	s_branch .LBB7_43
.LBB7_42:
	s_mov_b32 s8, 0
.LBB7_43:
	s_and_b32 vcc_lo, exec_lo, s8
	s_cbranch_vccz .LBB7_59
; %bb.44:
	s_cmp_lt_i32 s6, 27
	s_mov_b32 s7, -1
	s_cbranch_scc1 .LBB7_50
; %bb.45:
	v_cvt_u32_f64_e32 v2, v[0:1]
	s_cmp_gt_i32 s6, 27
	s_cbranch_scc0 .LBB7_47
; %bb.46:
	s_mov_b32 s7, 0
	global_store_dword v[4:5], v2, off
.LBB7_47:
	s_andn2_b32 vcc_lo, exec_lo, s7
	s_cbranch_vccnz .LBB7_49
; %bb.48:
	global_store_short v[4:5], v2, off
.LBB7_49:
	s_mov_b32 s7, 0
.LBB7_50:
	s_andn2_b32 vcc_lo, exec_lo, s7
	s_cbranch_vccnz .LBB7_58
; %bb.51:
	v_cvt_f32_f64_e32 v2, v[0:1]
	v_mov_b32_e32 v6, 0x80
	s_mov_b32 s7, exec_lo
	v_and_b32_e32 v3, 0x7fffffff, v2
	v_cmpx_gt_u32_e32 0x43800000, v3
	s_cbranch_execz .LBB7_57
; %bb.52:
	v_cmp_lt_u32_e32 vcc_lo, 0x3bffffff, v3
	s_mov_b32 s8, 0
                                        ; implicit-def: $vgpr3
	s_and_saveexec_b32 s9, vcc_lo
	s_xor_b32 s9, exec_lo, s9
	s_cbranch_execz .LBB7_279
; %bb.53:
	v_bfe_u32 v3, v2, 20, 1
	s_mov_b32 s8, exec_lo
	v_add3_u32 v3, v2, v3, 0x487ffff
	v_lshrrev_b32_e32 v3, 20, v3
	s_andn2_saveexec_b32 s9, s9
	s_cbranch_execnz .LBB7_280
.LBB7_54:
	s_or_b32 exec_lo, exec_lo, s9
	v_mov_b32_e32 v6, 0
	s_and_saveexec_b32 s9, s8
.LBB7_55:
	v_lshrrev_b32_e32 v2, 24, v2
	v_and_or_b32 v6, 0x80, v2, v3
.LBB7_56:
	s_or_b32 exec_lo, exec_lo, s9
.LBB7_57:
	s_or_b32 exec_lo, exec_lo, s7
	global_store_byte v[4:5], v6, off
.LBB7_58:
	s_mov_b32 s7, -1
.LBB7_59:
	s_mov_b32 s8, 0
.LBB7_60:
	s_and_b32 vcc_lo, exec_lo, s8
	s_cbranch_vccz .LBB7_101
; %bb.61:
	s_cmp_gt_i32 s6, 22
	s_mov_b32 s8, -1
	s_cbranch_scc0 .LBB7_93
; %bb.62:
	s_cmp_lt_i32 s6, 24
	s_mov_b32 s7, -1
	s_cbranch_scc1 .LBB7_82
; %bb.63:
	s_cmp_gt_i32 s6, 24
	s_cbranch_scc0 .LBB7_71
; %bb.64:
	v_cvt_f32_f64_e32 v2, v[0:1]
	v_mov_b32_e32 v6, 0x80
	s_mov_b32 s7, exec_lo
	v_and_b32_e32 v3, 0x7fffffff, v2
	v_cmpx_gt_u32_e32 0x47800000, v3
	s_cbranch_execz .LBB7_70
; %bb.65:
	v_cmp_lt_u32_e32 vcc_lo, 0x37ffffff, v3
	s_mov_b32 s8, 0
                                        ; implicit-def: $vgpr3
	s_and_saveexec_b32 s9, vcc_lo
	s_xor_b32 s9, exec_lo, s9
	s_cbranch_execz .LBB7_283
; %bb.66:
	v_bfe_u32 v3, v2, 21, 1
	s_mov_b32 s8, exec_lo
	v_add3_u32 v3, v2, v3, 0x88fffff
	v_lshrrev_b32_e32 v3, 21, v3
	s_andn2_saveexec_b32 s9, s9
	s_cbranch_execnz .LBB7_284
.LBB7_67:
	s_or_b32 exec_lo, exec_lo, s9
	v_mov_b32_e32 v6, 0
	s_and_saveexec_b32 s9, s8
.LBB7_68:
	v_lshrrev_b32_e32 v2, 24, v2
	v_and_or_b32 v6, 0x80, v2, v3
.LBB7_69:
	s_or_b32 exec_lo, exec_lo, s9
.LBB7_70:
	s_or_b32 exec_lo, exec_lo, s7
	s_mov_b32 s7, 0
	global_store_byte v[4:5], v6, off
.LBB7_71:
	s_and_b32 vcc_lo, exec_lo, s7
	s_cbranch_vccz .LBB7_81
; %bb.72:
	v_cvt_f32_f64_e32 v2, v[0:1]
	s_mov_b32 s7, exec_lo
                                        ; implicit-def: $vgpr3
	v_and_b32_e32 v6, 0x7fffffff, v2
	v_cmpx_gt_u32_e32 0x43f00000, v6
	s_xor_b32 s7, exec_lo, s7
	s_cbranch_execz .LBB7_78
; %bb.73:
	s_mov_b32 s8, exec_lo
                                        ; implicit-def: $vgpr3
	v_cmpx_lt_u32_e32 0x3c7fffff, v6
	s_xor_b32 s8, exec_lo, s8
; %bb.74:
	v_bfe_u32 v3, v2, 20, 1
	v_add3_u32 v3, v2, v3, 0x407ffff
	v_and_b32_e32 v6, 0xff00000, v3
	v_lshrrev_b32_e32 v3, 20, v3
	v_cmp_ne_u32_e32 vcc_lo, 0x7f00000, v6
	v_cndmask_b32_e32 v3, 0x7e, v3, vcc_lo
; %bb.75:
	s_andn2_saveexec_b32 s8, s8
; %bb.76:
	v_add_f32_e64 v3, 0x46800000, |v2|
; %bb.77:
	s_or_b32 exec_lo, exec_lo, s8
                                        ; implicit-def: $vgpr6
.LBB7_78:
	s_andn2_saveexec_b32 s7, s7
; %bb.79:
	v_mov_b32_e32 v3, 0x7f
	v_cmp_lt_u32_e32 vcc_lo, 0x7f800000, v6
	v_cndmask_b32_e32 v3, 0x7e, v3, vcc_lo
; %bb.80:
	s_or_b32 exec_lo, exec_lo, s7
	v_lshrrev_b32_e32 v2, 24, v2
	v_and_or_b32 v2, 0x80, v2, v3
	global_store_byte v[4:5], v2, off
.LBB7_81:
	s_mov_b32 s7, 0
.LBB7_82:
	s_andn2_b32 vcc_lo, exec_lo, s7
	s_cbranch_vccnz .LBB7_92
; %bb.83:
	v_cvt_f32_f64_e32 v2, v[0:1]
	s_mov_b32 s7, exec_lo
                                        ; implicit-def: $vgpr3
	v_and_b32_e32 v6, 0x7fffffff, v2
	v_cmpx_gt_u32_e32 0x47800000, v6
	s_xor_b32 s7, exec_lo, s7
	s_cbranch_execz .LBB7_89
; %bb.84:
	s_mov_b32 s8, exec_lo
                                        ; implicit-def: $vgpr3
	v_cmpx_lt_u32_e32 0x387fffff, v6
	s_xor_b32 s8, exec_lo, s8
; %bb.85:
	v_bfe_u32 v3, v2, 21, 1
	v_add3_u32 v3, v2, v3, 0x80fffff
	v_lshrrev_b32_e32 v3, 21, v3
; %bb.86:
	s_andn2_saveexec_b32 s8, s8
; %bb.87:
	v_add_f32_e64 v3, 0x43000000, |v2|
; %bb.88:
	s_or_b32 exec_lo, exec_lo, s8
                                        ; implicit-def: $vgpr6
.LBB7_89:
	s_andn2_saveexec_b32 s7, s7
; %bb.90:
	v_mov_b32_e32 v3, 0x7f
	v_cmp_lt_u32_e32 vcc_lo, 0x7f800000, v6
	v_cndmask_b32_e32 v3, 0x7c, v3, vcc_lo
; %bb.91:
	s_or_b32 exec_lo, exec_lo, s7
	v_lshrrev_b32_e32 v2, 24, v2
	v_and_or_b32 v2, 0x80, v2, v3
	global_store_byte v[4:5], v2, off
.LBB7_92:
	s_mov_b32 s8, 0
	s_mov_b32 s7, -1
.LBB7_93:
	s_andn2_b32 vcc_lo, exec_lo, s8
	s_cbranch_vccnz .LBB7_101
; %bb.94:
	s_cmp_gt_i32 s6, 14
	s_mov_b32 s8, -1
	s_cbranch_scc0 .LBB7_98
; %bb.95:
	s_cmp_eq_u32 s6, 15
	s_mov_b32 s4, -1
	s_cbranch_scc0 .LBB7_97
; %bb.96:
	v_cvt_f32_f64_e32 v2, v[0:1]
	s_mov_b32 s7, -1
	s_mov_b32 s4, 0
	v_bfe_u32 v3, v2, 16, 1
	v_cmp_o_f32_e32 vcc_lo, v2, v2
	v_add3_u32 v2, v2, v3, 0x7fff
	v_mov_b32_e32 v3, 0x7fc0
	v_cndmask_b32_sdwa v2, v3, v2, vcc_lo dst_sel:DWORD dst_unused:UNUSED_PAD src0_sel:DWORD src1_sel:WORD_1
	global_store_short v[4:5], v2, off
.LBB7_97:
	s_mov_b32 s8, 0
.LBB7_98:
	s_and_b32 vcc_lo, exec_lo, s8
	s_cbranch_vccz .LBB7_101
; %bb.99:
	s_cmp_eq_u32 s6, 11
	s_mov_b32 s4, -1
	s_cbranch_scc0 .LBB7_101
; %bb.100:
	v_cmp_neq_f64_e32 vcc_lo, 0, v[0:1]
	s_mov_b32 s7, -1
	s_mov_b32 s4, 0
	v_cndmask_b32_e64 v2, 0, 1, vcc_lo
	global_store_byte v[4:5], v2, off
.LBB7_101:
	s_branch .LBB7_20
.LBB7_102:
	s_and_b32 s5, 0xffff, s5
	s_mov_b32 s6, -1
	s_cmp_lt_i32 s5, 5
	s_cbranch_scc1 .LBB7_123
; %bb.103:
	s_cmp_lt_i32 s5, 8
	s_cbranch_scc1 .LBB7_113
; %bb.104:
	;; [unrolled: 3-line block ×3, first 2 shown]
	s_cmp_gt_i32 s5, 9
	s_cbranch_scc0 .LBB7_107
; %bb.106:
	v_mov_b32_e32 v2, 0
	s_mov_b32 s6, 0
	v_mov_b32_e32 v3, v2
	global_store_dwordx4 v[4:5], v[0:3], off
.LBB7_107:
	s_andn2_b32 vcc_lo, exec_lo, s6
	s_cbranch_vccnz .LBB7_109
; %bb.108:
	v_cvt_f32_f64_e32 v2, v[0:1]
	v_mov_b32_e32 v3, 0
	global_store_dwordx2 v[4:5], v[2:3], off
.LBB7_109:
	s_mov_b32 s6, 0
.LBB7_110:
	s_andn2_b32 vcc_lo, exec_lo, s6
	s_cbranch_vccnz .LBB7_112
; %bb.111:
	v_and_or_b32 v2, 0x1ff, v1, v0
	v_lshrrev_b32_e32 v3, 8, v1
	v_bfe_u32 v6, v1, 20, 11
	v_cmp_ne_u32_e32 vcc_lo, 0, v2
	v_sub_nc_u32_e32 v7, 0x3f1, v6
	v_add_nc_u32_e32 v6, 0xfffffc10, v6
	v_cndmask_b32_e64 v2, 0, 1, vcc_lo
	v_and_or_b32 v2, 0xffe, v3, v2
	v_med3_i32 v3, v7, 0, 13
	v_or_b32_e32 v7, 0x1000, v2
	v_lshrrev_b32_e32 v8, v3, v7
	v_lshlrev_b32_e32 v3, v3, v8
	v_cmp_ne_u32_e32 vcc_lo, v3, v7
	v_lshl_or_b32 v7, v6, 12, v2
	v_cndmask_b32_e64 v3, 0, 1, vcc_lo
	v_cmp_gt_i32_e32 vcc_lo, 1, v6
	v_or_b32_e32 v3, v8, v3
	v_cndmask_b32_e32 v3, v7, v3, vcc_lo
	v_and_b32_e32 v7, 7, v3
	v_lshrrev_b32_e32 v3, 2, v3
	v_cmp_lt_i32_e32 vcc_lo, 5, v7
	v_cndmask_b32_e64 v8, 0, 1, vcc_lo
	v_cmp_eq_u32_e32 vcc_lo, 3, v7
	v_cndmask_b32_e64 v7, 0, 1, vcc_lo
	v_cmp_ne_u32_e32 vcc_lo, 0, v2
	v_or_b32_e32 v7, v7, v8
	v_mov_b32_e32 v8, 0x7e00
	v_add_nc_u32_e32 v3, v3, v7
	v_cndmask_b32_e32 v2, 0x7c00, v8, vcc_lo
	v_cmp_gt_i32_e32 vcc_lo, 31, v6
	v_cndmask_b32_e32 v3, 0x7c00, v3, vcc_lo
	v_cmp_eq_u32_e32 vcc_lo, 0x40f, v6
	v_cndmask_b32_e32 v2, v3, v2, vcc_lo
	v_lshrrev_b32_e32 v3, 16, v1
	v_and_or_b32 v2, 0x8000, v3, v2
	v_and_b32_e32 v2, 0xffff, v2
	global_store_dword v[4:5], v2, off
.LBB7_112:
	s_mov_b32 s6, 0
.LBB7_113:
	s_andn2_b32 vcc_lo, exec_lo, s6
	s_cbranch_vccnz .LBB7_122
; %bb.114:
	s_cmp_lt_i32 s5, 6
	s_mov_b32 s6, -1
	s_cbranch_scc1 .LBB7_120
; %bb.115:
	s_cmp_gt_i32 s5, 6
	s_cbranch_scc0 .LBB7_117
; %bb.116:
	s_mov_b32 s6, 0
	global_store_dwordx2 v[4:5], v[0:1], off
.LBB7_117:
	s_andn2_b32 vcc_lo, exec_lo, s6
	s_cbranch_vccnz .LBB7_119
; %bb.118:
	v_cvt_f32_f64_e32 v2, v[0:1]
	global_store_dword v[4:5], v2, off
.LBB7_119:
	s_mov_b32 s6, 0
.LBB7_120:
	s_andn2_b32 vcc_lo, exec_lo, s6
	s_cbranch_vccnz .LBB7_122
; %bb.121:
	v_and_or_b32 v2, 0x1ff, v1, v0
	v_lshrrev_b32_e32 v3, 8, v1
	v_bfe_u32 v6, v1, 20, 11
	v_cmp_ne_u32_e32 vcc_lo, 0, v2
	v_sub_nc_u32_e32 v7, 0x3f1, v6
	v_add_nc_u32_e32 v6, 0xfffffc10, v6
	v_cndmask_b32_e64 v2, 0, 1, vcc_lo
	v_and_or_b32 v2, 0xffe, v3, v2
	v_med3_i32 v3, v7, 0, 13
	v_or_b32_e32 v7, 0x1000, v2
	v_lshrrev_b32_e32 v8, v3, v7
	v_lshlrev_b32_e32 v3, v3, v8
	v_cmp_ne_u32_e32 vcc_lo, v3, v7
	v_lshl_or_b32 v7, v6, 12, v2
	v_cndmask_b32_e64 v3, 0, 1, vcc_lo
	v_cmp_gt_i32_e32 vcc_lo, 1, v6
	v_or_b32_e32 v3, v8, v3
	v_cndmask_b32_e32 v3, v7, v3, vcc_lo
	v_and_b32_e32 v7, 7, v3
	v_lshrrev_b32_e32 v3, 2, v3
	v_cmp_lt_i32_e32 vcc_lo, 5, v7
	v_cndmask_b32_e64 v8, 0, 1, vcc_lo
	v_cmp_eq_u32_e32 vcc_lo, 3, v7
	v_cndmask_b32_e64 v7, 0, 1, vcc_lo
	v_cmp_ne_u32_e32 vcc_lo, 0, v2
	v_or_b32_e32 v7, v7, v8
	v_mov_b32_e32 v8, 0x7e00
	v_add_nc_u32_e32 v3, v3, v7
	v_cndmask_b32_e32 v2, 0x7c00, v8, vcc_lo
	v_cmp_gt_i32_e32 vcc_lo, 31, v6
	v_cndmask_b32_e32 v3, 0x7c00, v3, vcc_lo
	v_cmp_eq_u32_e32 vcc_lo, 0x40f, v6
	v_cndmask_b32_e32 v2, v3, v2, vcc_lo
	v_lshrrev_b32_e32 v3, 16, v1
	v_and_or_b32 v2, 0x8000, v3, v2
	global_store_short v[4:5], v2, off
.LBB7_122:
	s_mov_b32 s6, 0
.LBB7_123:
	s_andn2_b32 vcc_lo, exec_lo, s6
	s_cbranch_vccnz .LBB7_139
; %bb.124:
	s_cmp_lt_i32 s5, 2
	s_mov_b32 s6, -1
	s_cbranch_scc1 .LBB7_134
; %bb.125:
	s_cmp_lt_i32 s5, 3
	s_cbranch_scc1 .LBB7_131
; %bb.126:
	s_cmp_gt_i32 s5, 3
	s_cbranch_scc0 .LBB7_128
; %bb.127:
	v_trunc_f64_e32 v[2:3], v[0:1]
	s_mov_b32 s6, 0
	v_ldexp_f64 v[6:7], v[2:3], 0xffffffe0
	v_floor_f64_e32 v[6:7], v[6:7]
	v_fma_f64 v[2:3], 0xc1f00000, v[6:7], v[2:3]
	v_cvt_i32_f64_e32 v7, v[6:7]
	v_cvt_u32_f64_e32 v6, v[2:3]
	global_store_dwordx2 v[4:5], v[6:7], off
.LBB7_128:
	s_andn2_b32 vcc_lo, exec_lo, s6
	s_cbranch_vccnz .LBB7_130
; %bb.129:
	v_cvt_i32_f64_e32 v2, v[0:1]
	global_store_dword v[4:5], v2, off
.LBB7_130:
	s_mov_b32 s6, 0
.LBB7_131:
	s_andn2_b32 vcc_lo, exec_lo, s6
	s_cbranch_vccnz .LBB7_133
; %bb.132:
	v_cvt_i32_f64_e32 v2, v[0:1]
	global_store_short v[4:5], v2, off
.LBB7_133:
	s_mov_b32 s6, 0
.LBB7_134:
	s_andn2_b32 vcc_lo, exec_lo, s6
	s_cbranch_vccnz .LBB7_139
; %bb.135:
	s_cmp_gt_i32 s5, 0
	s_mov_b32 s5, -1
	s_cbranch_scc0 .LBB7_137
; %bb.136:
	v_cvt_i32_f64_e32 v2, v[0:1]
	s_mov_b32 s5, 0
	global_store_byte v[4:5], v2, off
.LBB7_137:
	s_andn2_b32 vcc_lo, exec_lo, s5
	s_cbranch_vccnz .LBB7_139
; %bb.138:
	v_trunc_f64_e32 v[0:1], v[0:1]
	v_ldexp_f64 v[2:3], v[0:1], 0xffffffe0
	v_floor_f64_e32 v[2:3], v[2:3]
	v_fma_f64 v[0:1], 0xc1f00000, v[2:3], v[0:1]
	v_cvt_u32_f64_e32 v0, v[0:1]
	global_store_byte v[4:5], v0, off
.LBB7_139:
.LBB7_140:
	v_add_nc_u32_e32 v46, 0x80, v46
	s_mov_b32 s5, -1
	s_branch .LBB7_251
.LBB7_141:
	s_mov_b32 s41, -1
                                        ; implicit-def: $vgpr0_vgpr1
.LBB7_142:
	s_mov_b32 s6, 0
.LBB7_143:
	s_and_b32 vcc_lo, exec_lo, s6
	s_cbranch_vccz .LBB7_147
; %bb.144:
	s_cmp_eq_u32 s4, 29
	s_cbranch_scc0 .LBB7_146
; %bb.145:
	global_load_dwordx2 v[0:1], v[2:3], off
	s_mov_b32 s5, -1
	s_mov_b32 s41, 0
	s_mov_b32 s6, 0
	s_waitcnt vmcnt(0)
	v_cvt_f64_u32_e32 v[4:5], v1
	v_cvt_f64_u32_e32 v[0:1], v0
	v_ldexp_f64 v[4:5], v[4:5], 32
	v_add_f64 v[0:1], v[4:5], v[0:1]
	s_branch .LBB7_148
.LBB7_146:
	s_mov_b32 s41, -1
                                        ; implicit-def: $vgpr0_vgpr1
.LBB7_147:
	s_mov_b32 s6, 0
.LBB7_148:
	s_and_b32 vcc_lo, exec_lo, s6
	s_cbranch_vccz .LBB7_168
; %bb.149:
	s_cmp_lt_i32 s4, 27
	s_cbranch_scc1 .LBB7_152
; %bb.150:
	s_cmp_gt_i32 s4, 27
	s_cbranch_scc0 .LBB7_153
; %bb.151:
	global_load_dword v0, v[2:3], off
	s_mov_b32 s5, 0
	s_waitcnt vmcnt(0)
	v_cvt_f64_u32_e32 v[0:1], v0
	s_branch .LBB7_154
.LBB7_152:
	s_mov_b32 s5, -1
                                        ; implicit-def: $vgpr0_vgpr1
	s_branch .LBB7_157
.LBB7_153:
	s_mov_b32 s5, -1
                                        ; implicit-def: $vgpr0_vgpr1
.LBB7_154:
	s_andn2_b32 vcc_lo, exec_lo, s5
	s_cbranch_vccnz .LBB7_156
; %bb.155:
	global_load_ushort v0, v[2:3], off
	s_waitcnt vmcnt(0)
	v_cvt_f64_u32_e32 v[0:1], v0
.LBB7_156:
	s_mov_b32 s5, 0
.LBB7_157:
	s_andn2_b32 vcc_lo, exec_lo, s5
	s_cbranch_vccnz .LBB7_167
; %bb.158:
	global_load_ubyte v4, v[2:3], off
	s_mov_b32 s5, 0
	s_mov_b32 s6, exec_lo
	s_waitcnt vmcnt(0)
	v_cmpx_lt_i16_e32 0x7f, v4
	s_xor_b32 s6, exec_lo, s6
	s_cbranch_execz .LBB7_162
; %bb.159:
	s_mov_b32 s5, -1
	s_mov_b32 s7, exec_lo
	v_cmpx_eq_u16_e32 0x80, v4
; %bb.160:
	s_xor_b32 s5, exec_lo, -1
; %bb.161:
	s_or_b32 exec_lo, exec_lo, s7
	s_and_b32 s5, s5, exec_lo
.LBB7_162:
	s_or_saveexec_b32 s6, s6
	v_bfrev_b32_e32 v0, 4
	v_mov_b32_e32 v1, 0x7ff80000
	s_xor_b32 exec_lo, exec_lo, s6
; %bb.163:
	v_cmp_ne_u16_e32 vcc_lo, 0, v4
	v_mov_b32_e32 v0, 0
	v_mov_b32_e32 v1, 0
	s_andn2_b32 s5, s5, exec_lo
	s_and_b32 s7, vcc_lo, exec_lo
	s_or_b32 s5, s5, s7
; %bb.164:
	s_or_b32 exec_lo, exec_lo, s6
	s_and_saveexec_b32 s6, s5
	s_cbranch_execz .LBB7_166
; %bb.165:
	v_and_b32_e32 v0, 0xffff, v4
	v_lshlrev_b32_e32 v4, 24, v4
	v_and_b32_e32 v1, 7, v0
	v_bfe_u32 v7, v0, 3, 4
	v_ffbh_u32_e32 v5, v1
	v_cmp_eq_u32_e32 vcc_lo, 0, v7
	v_min_u32_e32 v5, 32, v5
	v_subrev_nc_u32_e32 v6, 28, v5
	v_sub_nc_u32_e32 v5, 29, v5
	v_lshlrev_b32_e32 v0, v6, v0
	v_cndmask_b32_e32 v5, v7, v5, vcc_lo
	v_and_b32_e32 v0, 7, v0
	v_cndmask_b32_e32 v0, v1, v0, vcc_lo
	v_and_b32_e32 v1, 0x80000000, v4
	v_lshl_add_u32 v4, v5, 23, 0x3b800000
	v_lshlrev_b32_e32 v0, 20, v0
	v_or3_b32 v0, v1, v4, v0
	v_cvt_f64_f32_e32 v[0:1], v0
.LBB7_166:
	s_or_b32 exec_lo, exec_lo, s6
.LBB7_167:
	s_mov_b32 s5, -1
.LBB7_168:
	s_branch .LBB7_201
.LBB7_169:
	s_cmp_gt_i32 s4, 22
	s_cbranch_scc0 .LBB7_181
; %bb.170:
	s_cmp_lt_i32 s4, 24
	s_cbranch_scc1 .LBB7_182
; %bb.171:
	s_cmp_gt_i32 s4, 24
	s_cbranch_scc0 .LBB7_183
; %bb.172:
	global_load_ubyte v4, v[2:3], off
	s_mov_b32 s5, 0
	s_mov_b32 s6, exec_lo
	s_waitcnt vmcnt(0)
	v_cmpx_lt_i16_e32 0x7f, v4
	s_xor_b32 s6, exec_lo, s6
	s_cbranch_execz .LBB7_176
; %bb.173:
	s_mov_b32 s5, -1
	s_mov_b32 s7, exec_lo
	v_cmpx_eq_u16_e32 0x80, v4
; %bb.174:
	s_xor_b32 s5, exec_lo, -1
; %bb.175:
	s_or_b32 exec_lo, exec_lo, s7
	s_and_b32 s5, s5, exec_lo
.LBB7_176:
	s_or_saveexec_b32 s6, s6
	v_bfrev_b32_e32 v0, 4
	v_mov_b32_e32 v1, 0x7ff80000
	s_xor_b32 exec_lo, exec_lo, s6
; %bb.177:
	v_cmp_ne_u16_e32 vcc_lo, 0, v4
	v_mov_b32_e32 v0, 0
	v_mov_b32_e32 v1, 0
	s_andn2_b32 s5, s5, exec_lo
	s_and_b32 s7, vcc_lo, exec_lo
	s_or_b32 s5, s5, s7
; %bb.178:
	s_or_b32 exec_lo, exec_lo, s6
	s_and_saveexec_b32 s6, s5
	s_cbranch_execz .LBB7_180
; %bb.179:
	v_and_b32_e32 v0, 0xffff, v4
	v_lshlrev_b32_e32 v4, 24, v4
	v_and_b32_e32 v1, 3, v0
	v_bfe_u32 v7, v0, 2, 5
	v_ffbh_u32_e32 v5, v1
	v_cmp_eq_u32_e32 vcc_lo, 0, v7
	v_min_u32_e32 v5, 32, v5
	v_subrev_nc_u32_e32 v6, 29, v5
	v_sub_nc_u32_e32 v5, 30, v5
	v_lshlrev_b32_e32 v0, v6, v0
	v_cndmask_b32_e32 v5, v7, v5, vcc_lo
	v_and_b32_e32 v0, 3, v0
	v_cndmask_b32_e32 v0, v1, v0, vcc_lo
	v_and_b32_e32 v1, 0x80000000, v4
	v_lshl_add_u32 v4, v5, 23, 0x37800000
	v_lshlrev_b32_e32 v0, 21, v0
	v_or3_b32 v0, v1, v4, v0
	v_cvt_f64_f32_e32 v[0:1], v0
.LBB7_180:
	s_or_b32 exec_lo, exec_lo, s6
	s_mov_b32 s5, 0
	s_branch .LBB7_184
.LBB7_181:
	s_mov_b32 s6, -1
                                        ; implicit-def: $vgpr0_vgpr1
	s_branch .LBB7_190
.LBB7_182:
	s_mov_b32 s5, -1
                                        ; implicit-def: $vgpr0_vgpr1
	s_branch .LBB7_187
.LBB7_183:
	s_mov_b32 s5, -1
                                        ; implicit-def: $vgpr0_vgpr1
.LBB7_184:
	s_and_b32 vcc_lo, exec_lo, s5
	s_cbranch_vccz .LBB7_186
; %bb.185:
	global_load_ubyte v0, v[2:3], off
	s_waitcnt vmcnt(0)
	v_lshlrev_b32_e32 v0, 24, v0
	v_and_b32_e32 v1, 0x7f000000, v0
	v_ffbh_u32_e32 v4, v1
	v_add_nc_u32_e32 v6, 0x1000000, v1
	v_cmp_ne_u32_e32 vcc_lo, 0, v1
	v_min_u32_e32 v4, 32, v4
	v_sub_nc_u32_e64 v4, v4, 4 clamp
	v_lshlrev_b32_e32 v5, v4, v1
	v_lshlrev_b32_e32 v4, 23, v4
	v_lshrrev_b32_e32 v5, 4, v5
	v_sub_nc_u32_e32 v4, v5, v4
	v_ashrrev_i32_e32 v5, 8, v6
	v_add_nc_u32_e32 v4, 0x3c000000, v4
	v_and_or_b32 v4, 0x7f800000, v5, v4
	v_cndmask_b32_e32 v1, 0, v4, vcc_lo
	v_and_or_b32 v0, 0x80000000, v0, v1
	v_cvt_f64_f32_e32 v[0:1], v0
.LBB7_186:
	s_mov_b32 s5, 0
.LBB7_187:
	s_andn2_b32 vcc_lo, exec_lo, s5
	s_cbranch_vccnz .LBB7_189
; %bb.188:
	global_load_ubyte v0, v[2:3], off
	s_waitcnt vmcnt(0)
	v_lshlrev_b32_e32 v1, 25, v0
	v_lshlrev_b16 v0, 8, v0
	v_lshrrev_b32_e32 v4, 4, v1
	v_and_or_b32 v5, 0x7f00, v0, 0.5
	v_cmp_gt_u32_e32 vcc_lo, 0x8000000, v1
	v_bfe_i32 v0, v0, 0, 16
	v_or_b32_e32 v4, 0x70000000, v4
	v_add_f32_e32 v5, -0.5, v5
	v_mul_f32_e32 v4, 0x7800000, v4
	v_cndmask_b32_e32 v1, v4, v5, vcc_lo
	v_and_or_b32 v0, 0x80000000, v0, v1
	v_cvt_f64_f32_e32 v[0:1], v0
.LBB7_189:
	s_mov_b32 s6, 0
	s_mov_b32 s5, -1
.LBB7_190:
	s_andn2_b32 vcc_lo, exec_lo, s6
	s_cbranch_vccnz .LBB7_201
; %bb.191:
	s_cmp_gt_i32 s4, 14
	s_cbranch_scc0 .LBB7_194
; %bb.192:
	s_cmp_eq_u32 s4, 15
	s_cbranch_scc0 .LBB7_195
; %bb.193:
	global_load_ushort v0, v[2:3], off
	s_mov_b32 s5, -1
	s_mov_b32 s41, 0
	s_waitcnt vmcnt(0)
	v_lshlrev_b32_e32 v0, 16, v0
	v_cvt_f64_f32_e32 v[0:1], v0
	s_branch .LBB7_196
.LBB7_194:
	s_mov_b32 s6, -1
                                        ; implicit-def: $vgpr0_vgpr1
	s_branch .LBB7_197
.LBB7_195:
	s_mov_b32 s41, -1
                                        ; implicit-def: $vgpr0_vgpr1
.LBB7_196:
	s_mov_b32 s6, 0
.LBB7_197:
	s_and_b32 vcc_lo, exec_lo, s6
	s_cbranch_vccz .LBB7_201
; %bb.198:
	s_cmp_eq_u32 s4, 11
	s_cbranch_scc0 .LBB7_200
; %bb.199:
	global_load_ubyte v0, v[2:3], off
	s_mov_b32 s41, 0
	s_mov_b32 s5, -1
	s_waitcnt vmcnt(0)
	v_cmp_ne_u16_e32 vcc_lo, 0, v0
	v_mov_b32_e32 v0, 0
	v_cndmask_b32_e64 v1, 0, 0x3ff00000, vcc_lo
	s_branch .LBB7_201
.LBB7_200:
	s_mov_b32 s41, -1
                                        ; implicit-def: $vgpr0_vgpr1
.LBB7_201:
	s_branch .LBB7_10
.LBB7_202:
	s_cmp_lt_i32 s4, 5
	s_cbranch_scc1 .LBB7_207
; %bb.203:
	s_cmp_lt_i32 s4, 8
	s_cbranch_scc1 .LBB7_208
; %bb.204:
	;; [unrolled: 3-line block ×3, first 2 shown]
	s_cmp_gt_i32 s4, 9
	s_cbranch_scc0 .LBB7_210
; %bb.206:
	global_load_dwordx2 v[0:1], v[2:3], off
	s_mov_b32 s5, 0
	s_branch .LBB7_211
.LBB7_207:
                                        ; implicit-def: $vgpr0_vgpr1
	s_branch .LBB7_229
.LBB7_208:
	s_mov_b32 s5, -1
                                        ; implicit-def: $vgpr0_vgpr1
	s_branch .LBB7_217
.LBB7_209:
	s_mov_b32 s5, -1
                                        ; implicit-def: $vgpr0_vgpr1
	s_branch .LBB7_214
.LBB7_210:
	s_mov_b32 s5, -1
                                        ; implicit-def: $vgpr0_vgpr1
.LBB7_211:
	s_andn2_b32 vcc_lo, exec_lo, s5
	s_cbranch_vccnz .LBB7_213
; %bb.212:
	global_load_dword v0, v[2:3], off
	s_waitcnt vmcnt(0)
	v_cvt_f64_f32_e32 v[0:1], v0
.LBB7_213:
	s_mov_b32 s5, 0
.LBB7_214:
	s_andn2_b32 vcc_lo, exec_lo, s5
	s_cbranch_vccnz .LBB7_216
; %bb.215:
	global_load_dword v0, v[2:3], off
	s_waitcnt vmcnt(0)
	v_cvt_f32_f16_e32 v0, v0
	v_cvt_f64_f32_e32 v[0:1], v0
.LBB7_216:
	s_mov_b32 s5, 0
.LBB7_217:
	s_andn2_b32 vcc_lo, exec_lo, s5
	s_cbranch_vccnz .LBB7_228
; %bb.218:
	s_cmp_lt_i32 s4, 6
	s_cbranch_scc1 .LBB7_221
; %bb.219:
	s_cmp_gt_i32 s4, 6
	s_cbranch_scc0 .LBB7_222
; %bb.220:
	global_load_dwordx2 v[0:1], v[2:3], off
	s_mov_b32 s5, 0
	s_branch .LBB7_223
.LBB7_221:
	s_mov_b32 s5, -1
                                        ; implicit-def: $vgpr0_vgpr1
	s_branch .LBB7_226
.LBB7_222:
	s_mov_b32 s5, -1
                                        ; implicit-def: $vgpr0_vgpr1
.LBB7_223:
	s_andn2_b32 vcc_lo, exec_lo, s5
	s_cbranch_vccnz .LBB7_225
; %bb.224:
	global_load_dword v0, v[2:3], off
	s_waitcnt vmcnt(0)
	v_cvt_f64_f32_e32 v[0:1], v0
.LBB7_225:
	s_mov_b32 s5, 0
.LBB7_226:
	s_andn2_b32 vcc_lo, exec_lo, s5
	s_cbranch_vccnz .LBB7_228
; %bb.227:
	global_load_ushort v0, v[2:3], off
	s_waitcnt vmcnt(0)
	v_cvt_f32_f16_e32 v0, v0
	v_cvt_f64_f32_e32 v[0:1], v0
.LBB7_228:
	s_cbranch_execnz .LBB7_248
.LBB7_229:
	s_cmp_lt_i32 s4, 2
	s_cbranch_scc1 .LBB7_233
; %bb.230:
	s_cmp_lt_i32 s4, 3
	s_cbranch_scc1 .LBB7_234
; %bb.231:
	s_cmp_gt_i32 s4, 3
	s_cbranch_scc0 .LBB7_235
; %bb.232:
	global_load_dwordx2 v[0:1], v[2:3], off
	s_mov_b32 s5, 0
	s_waitcnt vmcnt(0)
	v_cvt_f64_i32_e32 v[4:5], v1
	v_cvt_f64_u32_e32 v[0:1], v0
	v_ldexp_f64 v[4:5], v[4:5], 32
	v_add_f64 v[0:1], v[4:5], v[0:1]
	s_branch .LBB7_236
.LBB7_233:
	s_mov_b32 s5, -1
                                        ; implicit-def: $vgpr0_vgpr1
	s_branch .LBB7_242
.LBB7_234:
	s_mov_b32 s5, -1
                                        ; implicit-def: $vgpr0_vgpr1
	s_branch .LBB7_239
.LBB7_235:
	s_mov_b32 s5, -1
                                        ; implicit-def: $vgpr0_vgpr1
.LBB7_236:
	s_andn2_b32 vcc_lo, exec_lo, s5
	s_cbranch_vccnz .LBB7_238
; %bb.237:
	global_load_dword v0, v[2:3], off
	s_waitcnt vmcnt(0)
	v_cvt_f64_i32_e32 v[0:1], v0
.LBB7_238:
	s_mov_b32 s5, 0
.LBB7_239:
	s_andn2_b32 vcc_lo, exec_lo, s5
	s_cbranch_vccnz .LBB7_241
; %bb.240:
	global_load_sshort v0, v[2:3], off
	s_waitcnt vmcnt(0)
	v_cvt_f64_i32_e32 v[0:1], v0
.LBB7_241:
	s_mov_b32 s5, 0
.LBB7_242:
	s_andn2_b32 vcc_lo, exec_lo, s5
	s_cbranch_vccnz .LBB7_248
; %bb.243:
	s_cmp_gt_i32 s4, 0
	s_mov_b32 s4, 0
	s_cbranch_scc0 .LBB7_245
; %bb.244:
	global_load_sbyte v0, v[2:3], off
	s_waitcnt vmcnt(0)
	v_cvt_f64_i32_e32 v[0:1], v0
	s_branch .LBB7_246
.LBB7_245:
	s_mov_b32 s4, -1
                                        ; implicit-def: $vgpr0_vgpr1
.LBB7_246:
	s_andn2_b32 vcc_lo, exec_lo, s4
	s_cbranch_vccnz .LBB7_248
; %bb.247:
	global_load_ubyte v0, v[2:3], off
	s_waitcnt vmcnt(0)
	v_cvt_f64_u32_e32 v[0:1], v0
.LBB7_248:
	s_branch .LBB7_11
.LBB7_249:
	s_mov_b32 s4, 0
.LBB7_250:
	s_mov_b32 s5, 0
                                        ; implicit-def: $vgpr46
.LBB7_251:
	s_and_b32 s35, s4, exec_lo
	s_and_b32 s41, s41, exec_lo
	s_orn2_b32 s5, s5, exec_lo
.LBB7_252:
	s_or_b32 exec_lo, exec_lo, s42
	s_mov_b32 s6, 0
	s_mov_b32 s4, 0
                                        ; implicit-def: $vgpr0_vgpr1
                                        ; implicit-def: $vgpr2_vgpr3
	s_and_saveexec_b32 s42, s5
	s_cbranch_execz .LBB7_261
; %bb.253:
	s_mov_b32 s4, -1
	s_mov_b32 s43, s41
	s_mov_b32 s44, s35
	s_mov_b32 s45, exec_lo
	v_cmpx_gt_i32_e64 s40, v46
	s_cbranch_execz .LBB7_515
; %bb.254:
	s_waitcnt vmcnt(0)
	v_mul_lo_u32 v0, v46, s27
	s_and_b32 s4, 0xffff, s33
	s_cmp_lt_i32 s4, 11
	v_ashrrev_i32_e32 v1, 31, v0
	v_add_co_u32 v2, vcc_lo, s38, v0
	v_add_co_ci_u32_e64 v3, null, s39, v1, vcc_lo
	s_cbranch_scc1 .LBB7_264
; %bb.255:
	s_cmp_gt_i32 s4, 25
	s_cbranch_scc0 .LBB7_273
; %bb.256:
	s_cmp_gt_i32 s4, 28
	s_cbranch_scc0 .LBB7_275
	;; [unrolled: 3-line block ×4, first 2 shown]
; %bb.259:
	s_cmp_eq_u32 s4, 46
	s_cbranch_scc0 .LBB7_285
; %bb.260:
	global_load_dword v0, v[2:3], off
	s_mov_b32 s5, -1
	s_mov_b32 s43, 0
	s_waitcnt vmcnt(0)
	v_lshlrev_b32_e32 v0, 16, v0
	v_cvt_f64_f32_e32 v[0:1], v0
	s_branch .LBB7_287
.LBB7_261:
	s_or_b32 exec_lo, exec_lo, s42
	s_mov_b32 s40, 0
	s_and_saveexec_b32 s5, s41
	s_cbranch_execnz .LBB7_863
.LBB7_262:
	s_or_b32 exec_lo, exec_lo, s5
	s_and_saveexec_b32 s5, s43
	s_xor_b32 s5, exec_lo, s5
	s_cbranch_execz .LBB7_864
.LBB7_263:
	s_waitcnt vmcnt(0)
	global_load_ubyte v2, v[0:1], off
	s_or_b32 s4, s4, exec_lo
	s_waitcnt vmcnt(0)
	v_cmp_ne_u16_e32 vcc_lo, 0, v2
	v_mov_b32_e32 v2, 0
	v_cndmask_b32_e64 v3, 0, 0x3ff00000, vcc_lo
	s_or_b32 exec_lo, exec_lo, s5
	s_and_saveexec_b32 s5, s6
	s_cbranch_execz .LBB7_910
	s_branch .LBB7_865
.LBB7_264:
	s_mov_b32 s5, 0
	s_mov_b32 s43, s41
                                        ; implicit-def: $vgpr0_vgpr1
	s_cbranch_execnz .LBB7_464
.LBB7_265:
	s_andn2_b32 vcc_lo, exec_lo, s5
	s_cbranch_vccnz .LBB7_512
.LBB7_266:
	s_getpc_b64 s[4:5]
	s_add_u32 s4, s4, _ZZZZN2at6native12_GLOBAL__N_121bessel_j1_kernel_cudaERNS_18TensorIteratorBaseEENKUlvE_clEvENKUlvE_clEvENKUldE_clEd@rel32@lo+4
	s_addc_u32 s5, s5, _ZZZZN2at6native12_GLOBAL__N_121bessel_j1_kernel_cudaERNS_18TensorIteratorBaseEENKUlvE_clEvENKUlvE_clEvENKUldE_clEd@rel32@hi+12
	s_swappc_b64 s[30:31], s[4:5]
	v_mul_lo_u32 v2, v46, s26
	s_and_b32 s5, s28, 0xff
	s_cmp_lt_i32 s5, 11
	v_ashrrev_i32_e32 v3, 31, v2
	v_add_co_u32 v4, vcc_lo, s36, v2
	v_add_co_ci_u32_e64 v5, null, s37, v3, vcc_lo
	s_cbranch_scc1 .LBB7_274
; %bb.267:
	s_and_b32 s6, 0xffff, s5
	s_cmp_gt_i32 s6, 25
	s_cbranch_scc0 .LBB7_276
; %bb.268:
	s_cmp_gt_i32 s6, 28
	s_cbranch_scc0 .LBB7_278
; %bb.269:
	;; [unrolled: 3-line block ×4, first 2 shown]
	s_mov_b32 s8, 0
	s_mov_b32 s4, -1
	s_cmp_eq_u32 s6, 46
	s_mov_b32 s7, 0
	s_cbranch_scc0 .LBB7_291
; %bb.272:
	v_cvt_f32_f64_e32 v2, v[0:1]
	s_mov_b32 s7, -1
	s_mov_b32 s4, 0
	v_bfe_u32 v3, v2, 16, 1
	v_cmp_o_f32_e32 vcc_lo, v2, v2
	v_add3_u32 v2, v2, v3, 0x7fff
	v_mov_b32_e32 v3, 0x7fc0
	v_cndmask_b32_sdwa v2, v3, v2, vcc_lo dst_sel:DWORD dst_unused:UNUSED_PAD src0_sel:DWORD src1_sel:WORD_1
	global_store_dword v[4:5], v2, off
	s_branch .LBB7_291
.LBB7_273:
	s_mov_b32 s6, -1
	s_mov_b32 s5, 0
	s_mov_b32 s43, s41
                                        ; implicit-def: $vgpr0_vgpr1
	s_branch .LBB7_430
.LBB7_274:
	s_mov_b32 s6, -1
	s_mov_b32 s7, 0
	s_mov_b32 s4, s35
	s_branch .LBB7_360
.LBB7_275:
	s_mov_b32 s6, -1
	s_mov_b32 s5, 0
	s_mov_b32 s43, s41
                                        ; implicit-def: $vgpr0_vgpr1
	s_branch .LBB7_409
.LBB7_276:
	s_mov_b32 s8, -1
	s_mov_b32 s7, 0
	s_mov_b32 s4, s35
	s_branch .LBB7_318
.LBB7_277:
	s_mov_b32 s6, -1
	s_mov_b32 s5, 0
	s_mov_b32 s43, s41
                                        ; implicit-def: $vgpr0_vgpr1
	s_branch .LBB7_404
.LBB7_278:
	s_mov_b32 s8, -1
	s_mov_b32 s7, 0
	s_mov_b32 s4, s35
	s_branch .LBB7_301
.LBB7_279:
	s_andn2_saveexec_b32 s9, s9
	s_cbranch_execz .LBB7_54
.LBB7_280:
	v_add_f32_e64 v3, 0x46000000, |v2|
	s_andn2_b32 s8, s8, exec_lo
	v_and_b32_e32 v3, 0xff, v3
	v_cmp_ne_u32_e32 vcc_lo, 0, v3
	s_and_b32 s10, vcc_lo, exec_lo
	s_or_b32 s8, s8, s10
	s_or_b32 exec_lo, exec_lo, s9
	v_mov_b32_e32 v6, 0
	s_and_saveexec_b32 s9, s8
	s_cbranch_execnz .LBB7_55
	s_branch .LBB7_56
.LBB7_281:
	s_mov_b32 s6, -1
	s_mov_b32 s5, 0
	s_mov_b32 s43, s41
	s_branch .LBB7_286
.LBB7_282:
	s_mov_b32 s8, -1
	s_mov_b32 s7, 0
	s_mov_b32 s4, s35
	s_branch .LBB7_297
.LBB7_283:
	s_andn2_saveexec_b32 s9, s9
	s_cbranch_execz .LBB7_67
.LBB7_284:
	v_add_f32_e64 v3, 0x42800000, |v2|
	s_andn2_b32 s8, s8, exec_lo
	v_and_b32_e32 v3, 0xff, v3
	v_cmp_ne_u32_e32 vcc_lo, 0, v3
	s_and_b32 s10, vcc_lo, exec_lo
	s_or_b32 s8, s8, s10
	s_or_b32 exec_lo, exec_lo, s9
	v_mov_b32_e32 v6, 0
	s_and_saveexec_b32 s9, s8
	s_cbranch_execnz .LBB7_68
	s_branch .LBB7_69
.LBB7_285:
	s_mov_b32 s43, -1
	s_mov_b32 s5, 0
.LBB7_286:
                                        ; implicit-def: $vgpr0_vgpr1
.LBB7_287:
	s_and_b32 vcc_lo, exec_lo, s6
	s_cbranch_vccz .LBB7_403
; %bb.288:
	s_cmp_eq_u32 s4, 44
	s_cbranch_scc0 .LBB7_402
; %bb.289:
	global_load_ubyte v4, v[2:3], off
	s_mov_b32 s43, 0
	s_mov_b32 s5, -1
	s_waitcnt vmcnt(0)
	v_lshlrev_b32_e32 v0, 23, v4
	v_cmp_ne_u32_e32 vcc_lo, 0xff, v4
	v_cvt_f64_f32_e32 v[0:1], v0
	v_cndmask_b32_e32 v0, 0x20000000, v0, vcc_lo
	v_cndmask_b32_e32 v1, 0x7ff80000, v1, vcc_lo
	v_cmp_ne_u32_e32 vcc_lo, 0, v4
	v_cndmask_b32_e32 v1, 0x38000000, v1, vcc_lo
	v_cndmask_b32_e32 v0, 0, v0, vcc_lo
	s_branch .LBB7_403
.LBB7_290:
	s_mov_b32 s8, -1
	s_mov_b32 s7, 0
	s_mov_b32 s4, s35
.LBB7_291:
	s_and_b32 vcc_lo, exec_lo, s8
	s_cbranch_vccz .LBB7_296
; %bb.292:
	s_cmp_eq_u32 s6, 44
	s_mov_b32 s4, -1
	s_cbranch_scc0 .LBB7_296
; %bb.293:
	v_cvt_f32_f64_e32 v2, v[0:1]
	v_mov_b32_e32 v3, 0xff
	s_mov_b32 s7, exec_lo
	v_bfe_u32 v6, v2, 23, 8
	v_cmpx_ne_u32_e32 0xff, v6
	s_cbranch_execz .LBB7_295
; %bb.294:
	v_and_b32_e32 v3, 0x400000, v2
	v_and_or_b32 v6, 0x3fffff, v2, v6
	v_lshrrev_b32_e32 v2, 23, v2
	v_cmp_ne_u32_e32 vcc_lo, 0, v3
	v_cmp_ne_u32_e64 s4, 0, v6
	s_and_b32 s4, vcc_lo, s4
	v_cndmask_b32_e64 v3, 0, 1, s4
	v_add_nc_u32_e32 v3, v2, v3
.LBB7_295:
	s_or_b32 exec_lo, exec_lo, s7
	s_mov_b32 s7, -1
	s_mov_b32 s4, 0
	global_store_byte v[4:5], v3, off
.LBB7_296:
	s_mov_b32 s8, 0
.LBB7_297:
	s_and_b32 vcc_lo, exec_lo, s8
	s_cbranch_vccz .LBB7_300
; %bb.298:
	s_cmp_eq_u32 s6, 29
	s_mov_b32 s4, -1
	s_cbranch_scc0 .LBB7_300
; %bb.299:
	v_trunc_f64_e32 v[2:3], v[0:1]
	s_mov_b32 s7, -1
	s_mov_b32 s4, 0
	s_mov_b32 s8, 0
	v_ldexp_f64 v[6:7], v[2:3], 0xffffffe0
	v_floor_f64_e32 v[6:7], v[6:7]
	v_fma_f64 v[2:3], 0xc1f00000, v[6:7], v[2:3]
	v_cvt_u32_f64_e32 v7, v[6:7]
	v_cvt_u32_f64_e32 v6, v[2:3]
	global_store_dwordx2 v[4:5], v[6:7], off
	s_branch .LBB7_301
.LBB7_300:
	s_mov_b32 s8, 0
.LBB7_301:
	s_and_b32 vcc_lo, exec_lo, s8
	s_cbranch_vccz .LBB7_317
; %bb.302:
	s_cmp_lt_i32 s6, 27
	s_mov_b32 s7, -1
	s_cbranch_scc1 .LBB7_308
; %bb.303:
	v_cvt_u32_f64_e32 v2, v[0:1]
	s_cmp_gt_i32 s6, 27
	s_cbranch_scc0 .LBB7_305
; %bb.304:
	s_mov_b32 s7, 0
	global_store_dword v[4:5], v2, off
.LBB7_305:
	s_andn2_b32 vcc_lo, exec_lo, s7
	s_cbranch_vccnz .LBB7_307
; %bb.306:
	global_store_short v[4:5], v2, off
.LBB7_307:
	s_mov_b32 s7, 0
.LBB7_308:
	s_andn2_b32 vcc_lo, exec_lo, s7
	s_cbranch_vccnz .LBB7_316
; %bb.309:
	v_cvt_f32_f64_e32 v2, v[0:1]
	v_mov_b32_e32 v6, 0x80
	s_mov_b32 s7, exec_lo
	v_and_b32_e32 v3, 0x7fffffff, v2
	v_cmpx_gt_u32_e32 0x43800000, v3
	s_cbranch_execz .LBB7_315
; %bb.310:
	v_cmp_lt_u32_e32 vcc_lo, 0x3bffffff, v3
	s_mov_b32 s8, 0
                                        ; implicit-def: $vgpr3
	s_and_saveexec_b32 s9, vcc_lo
	s_xor_b32 s9, exec_lo, s9
	s_cbranch_execz .LBB7_528
; %bb.311:
	v_bfe_u32 v3, v2, 20, 1
	s_mov_b32 s8, exec_lo
	v_add3_u32 v3, v2, v3, 0x487ffff
	v_lshrrev_b32_e32 v3, 20, v3
	s_andn2_saveexec_b32 s9, s9
	s_cbranch_execnz .LBB7_529
.LBB7_312:
	s_or_b32 exec_lo, exec_lo, s9
	v_mov_b32_e32 v6, 0
	s_and_saveexec_b32 s9, s8
.LBB7_313:
	v_lshrrev_b32_e32 v2, 24, v2
	v_and_or_b32 v6, 0x80, v2, v3
.LBB7_314:
	s_or_b32 exec_lo, exec_lo, s9
.LBB7_315:
	s_or_b32 exec_lo, exec_lo, s7
	global_store_byte v[4:5], v6, off
.LBB7_316:
	s_mov_b32 s7, -1
.LBB7_317:
	s_mov_b32 s8, 0
.LBB7_318:
	s_and_b32 vcc_lo, exec_lo, s8
	s_cbranch_vccz .LBB7_359
; %bb.319:
	s_cmp_gt_i32 s6, 22
	s_mov_b32 s8, -1
	s_cbranch_scc0 .LBB7_351
; %bb.320:
	s_cmp_lt_i32 s6, 24
	s_mov_b32 s7, -1
	s_cbranch_scc1 .LBB7_340
; %bb.321:
	s_cmp_gt_i32 s6, 24
	s_cbranch_scc0 .LBB7_329
; %bb.322:
	v_cvt_f32_f64_e32 v2, v[0:1]
	v_mov_b32_e32 v6, 0x80
	s_mov_b32 s7, exec_lo
	v_and_b32_e32 v3, 0x7fffffff, v2
	v_cmpx_gt_u32_e32 0x47800000, v3
	s_cbranch_execz .LBB7_328
; %bb.323:
	v_cmp_lt_u32_e32 vcc_lo, 0x37ffffff, v3
	s_mov_b32 s8, 0
                                        ; implicit-def: $vgpr3
	s_and_saveexec_b32 s9, vcc_lo
	s_xor_b32 s9, exec_lo, s9
	s_cbranch_execz .LBB7_531
; %bb.324:
	v_bfe_u32 v3, v2, 21, 1
	s_mov_b32 s8, exec_lo
	v_add3_u32 v3, v2, v3, 0x88fffff
	v_lshrrev_b32_e32 v3, 21, v3
	s_andn2_saveexec_b32 s9, s9
	s_cbranch_execnz .LBB7_532
.LBB7_325:
	s_or_b32 exec_lo, exec_lo, s9
	v_mov_b32_e32 v6, 0
	s_and_saveexec_b32 s9, s8
.LBB7_326:
	v_lshrrev_b32_e32 v2, 24, v2
	v_and_or_b32 v6, 0x80, v2, v3
.LBB7_327:
	s_or_b32 exec_lo, exec_lo, s9
.LBB7_328:
	s_or_b32 exec_lo, exec_lo, s7
	s_mov_b32 s7, 0
	global_store_byte v[4:5], v6, off
.LBB7_329:
	s_and_b32 vcc_lo, exec_lo, s7
	s_cbranch_vccz .LBB7_339
; %bb.330:
	v_cvt_f32_f64_e32 v2, v[0:1]
	s_mov_b32 s7, exec_lo
                                        ; implicit-def: $vgpr3
	v_and_b32_e32 v6, 0x7fffffff, v2
	v_cmpx_gt_u32_e32 0x43f00000, v6
	s_xor_b32 s7, exec_lo, s7
	s_cbranch_execz .LBB7_336
; %bb.331:
	s_mov_b32 s8, exec_lo
                                        ; implicit-def: $vgpr3
	v_cmpx_lt_u32_e32 0x3c7fffff, v6
	s_xor_b32 s8, exec_lo, s8
; %bb.332:
	v_bfe_u32 v3, v2, 20, 1
	v_add3_u32 v3, v2, v3, 0x407ffff
	v_and_b32_e32 v6, 0xff00000, v3
	v_lshrrev_b32_e32 v3, 20, v3
	v_cmp_ne_u32_e32 vcc_lo, 0x7f00000, v6
	v_cndmask_b32_e32 v3, 0x7e, v3, vcc_lo
; %bb.333:
	s_andn2_saveexec_b32 s8, s8
; %bb.334:
	v_add_f32_e64 v3, 0x46800000, |v2|
; %bb.335:
	s_or_b32 exec_lo, exec_lo, s8
                                        ; implicit-def: $vgpr6
.LBB7_336:
	s_andn2_saveexec_b32 s7, s7
; %bb.337:
	v_mov_b32_e32 v3, 0x7f
	v_cmp_lt_u32_e32 vcc_lo, 0x7f800000, v6
	v_cndmask_b32_e32 v3, 0x7e, v3, vcc_lo
; %bb.338:
	s_or_b32 exec_lo, exec_lo, s7
	v_lshrrev_b32_e32 v2, 24, v2
	v_and_or_b32 v2, 0x80, v2, v3
	global_store_byte v[4:5], v2, off
.LBB7_339:
	s_mov_b32 s7, 0
.LBB7_340:
	s_andn2_b32 vcc_lo, exec_lo, s7
	s_cbranch_vccnz .LBB7_350
; %bb.341:
	v_cvt_f32_f64_e32 v2, v[0:1]
	s_mov_b32 s7, exec_lo
                                        ; implicit-def: $vgpr3
	v_and_b32_e32 v6, 0x7fffffff, v2
	v_cmpx_gt_u32_e32 0x47800000, v6
	s_xor_b32 s7, exec_lo, s7
	s_cbranch_execz .LBB7_347
; %bb.342:
	s_mov_b32 s8, exec_lo
                                        ; implicit-def: $vgpr3
	v_cmpx_lt_u32_e32 0x387fffff, v6
	s_xor_b32 s8, exec_lo, s8
; %bb.343:
	v_bfe_u32 v3, v2, 21, 1
	v_add3_u32 v3, v2, v3, 0x80fffff
	v_lshrrev_b32_e32 v3, 21, v3
; %bb.344:
	s_andn2_saveexec_b32 s8, s8
; %bb.345:
	v_add_f32_e64 v3, 0x43000000, |v2|
; %bb.346:
	s_or_b32 exec_lo, exec_lo, s8
                                        ; implicit-def: $vgpr6
.LBB7_347:
	s_andn2_saveexec_b32 s7, s7
; %bb.348:
	v_mov_b32_e32 v3, 0x7f
	v_cmp_lt_u32_e32 vcc_lo, 0x7f800000, v6
	v_cndmask_b32_e32 v3, 0x7c, v3, vcc_lo
; %bb.349:
	s_or_b32 exec_lo, exec_lo, s7
	v_lshrrev_b32_e32 v2, 24, v2
	v_and_or_b32 v2, 0x80, v2, v3
	global_store_byte v[4:5], v2, off
.LBB7_350:
	s_mov_b32 s8, 0
	s_mov_b32 s7, -1
.LBB7_351:
	s_andn2_b32 vcc_lo, exec_lo, s8
	s_cbranch_vccnz .LBB7_359
; %bb.352:
	s_cmp_gt_i32 s6, 14
	s_mov_b32 s8, -1
	s_cbranch_scc0 .LBB7_356
; %bb.353:
	s_cmp_eq_u32 s6, 15
	s_mov_b32 s4, -1
	s_cbranch_scc0 .LBB7_355
; %bb.354:
	v_cvt_f32_f64_e32 v2, v[0:1]
	s_mov_b32 s7, -1
	s_mov_b32 s4, 0
	v_bfe_u32 v3, v2, 16, 1
	v_cmp_o_f32_e32 vcc_lo, v2, v2
	v_add3_u32 v2, v2, v3, 0x7fff
	v_mov_b32_e32 v3, 0x7fc0
	v_cndmask_b32_sdwa v2, v3, v2, vcc_lo dst_sel:DWORD dst_unused:UNUSED_PAD src0_sel:DWORD src1_sel:WORD_1
	global_store_short v[4:5], v2, off
.LBB7_355:
	s_mov_b32 s8, 0
.LBB7_356:
	s_and_b32 vcc_lo, exec_lo, s8
	s_cbranch_vccz .LBB7_359
; %bb.357:
	s_cmp_eq_u32 s6, 11
	s_mov_b32 s4, -1
	s_cbranch_scc0 .LBB7_359
; %bb.358:
	v_cmp_neq_f64_e32 vcc_lo, 0, v[0:1]
	s_mov_b32 s7, -1
	s_mov_b32 s4, 0
	v_cndmask_b32_e64 v2, 0, 1, vcc_lo
	global_store_byte v[4:5], v2, off
.LBB7_359:
	s_mov_b32 s6, 0
.LBB7_360:
	s_and_b32 vcc_lo, exec_lo, s6
	s_cbranch_vccz .LBB7_399
; %bb.361:
	s_and_b32 s5, 0xffff, s5
	s_mov_b32 s6, -1
	s_cmp_lt_i32 s5, 5
	s_cbranch_scc1 .LBB7_382
; %bb.362:
	s_cmp_lt_i32 s5, 8
	s_cbranch_scc1 .LBB7_372
; %bb.363:
	;; [unrolled: 3-line block ×3, first 2 shown]
	s_cmp_gt_i32 s5, 9
	s_cbranch_scc0 .LBB7_366
; %bb.365:
	v_mov_b32_e32 v2, 0
	s_mov_b32 s6, 0
	v_mov_b32_e32 v3, v2
	global_store_dwordx4 v[4:5], v[0:3], off
.LBB7_366:
	s_andn2_b32 vcc_lo, exec_lo, s6
	s_cbranch_vccnz .LBB7_368
; %bb.367:
	v_cvt_f32_f64_e32 v2, v[0:1]
	v_mov_b32_e32 v3, 0
	global_store_dwordx2 v[4:5], v[2:3], off
.LBB7_368:
	s_mov_b32 s6, 0
.LBB7_369:
	s_andn2_b32 vcc_lo, exec_lo, s6
	s_cbranch_vccnz .LBB7_371
; %bb.370:
	v_and_or_b32 v2, 0x1ff, v1, v0
	v_lshrrev_b32_e32 v3, 8, v1
	v_bfe_u32 v6, v1, 20, 11
	v_cmp_ne_u32_e32 vcc_lo, 0, v2
	v_sub_nc_u32_e32 v7, 0x3f1, v6
	v_add_nc_u32_e32 v6, 0xfffffc10, v6
	v_cndmask_b32_e64 v2, 0, 1, vcc_lo
	v_and_or_b32 v2, 0xffe, v3, v2
	v_med3_i32 v3, v7, 0, 13
	v_or_b32_e32 v7, 0x1000, v2
	v_lshrrev_b32_e32 v8, v3, v7
	v_lshlrev_b32_e32 v3, v3, v8
	v_cmp_ne_u32_e32 vcc_lo, v3, v7
	v_lshl_or_b32 v7, v6, 12, v2
	v_cndmask_b32_e64 v3, 0, 1, vcc_lo
	v_cmp_gt_i32_e32 vcc_lo, 1, v6
	v_or_b32_e32 v3, v8, v3
	v_cndmask_b32_e32 v3, v7, v3, vcc_lo
	v_and_b32_e32 v7, 7, v3
	v_lshrrev_b32_e32 v3, 2, v3
	v_cmp_lt_i32_e32 vcc_lo, 5, v7
	v_cndmask_b32_e64 v8, 0, 1, vcc_lo
	v_cmp_eq_u32_e32 vcc_lo, 3, v7
	v_cndmask_b32_e64 v7, 0, 1, vcc_lo
	v_cmp_ne_u32_e32 vcc_lo, 0, v2
	v_or_b32_e32 v7, v7, v8
	v_mov_b32_e32 v8, 0x7e00
	v_add_nc_u32_e32 v3, v3, v7
	v_cndmask_b32_e32 v2, 0x7c00, v8, vcc_lo
	v_cmp_gt_i32_e32 vcc_lo, 31, v6
	v_cndmask_b32_e32 v3, 0x7c00, v3, vcc_lo
	v_cmp_eq_u32_e32 vcc_lo, 0x40f, v6
	v_cndmask_b32_e32 v2, v3, v2, vcc_lo
	v_lshrrev_b32_e32 v3, 16, v1
	v_and_or_b32 v2, 0x8000, v3, v2
	v_and_b32_e32 v2, 0xffff, v2
	global_store_dword v[4:5], v2, off
.LBB7_371:
	s_mov_b32 s6, 0
.LBB7_372:
	s_andn2_b32 vcc_lo, exec_lo, s6
	s_cbranch_vccnz .LBB7_381
; %bb.373:
	s_cmp_lt_i32 s5, 6
	s_mov_b32 s6, -1
	s_cbranch_scc1 .LBB7_379
; %bb.374:
	s_cmp_gt_i32 s5, 6
	s_cbranch_scc0 .LBB7_376
; %bb.375:
	s_mov_b32 s6, 0
	global_store_dwordx2 v[4:5], v[0:1], off
.LBB7_376:
	s_andn2_b32 vcc_lo, exec_lo, s6
	s_cbranch_vccnz .LBB7_378
; %bb.377:
	v_cvt_f32_f64_e32 v2, v[0:1]
	global_store_dword v[4:5], v2, off
.LBB7_378:
	s_mov_b32 s6, 0
.LBB7_379:
	s_andn2_b32 vcc_lo, exec_lo, s6
	s_cbranch_vccnz .LBB7_381
; %bb.380:
	v_and_or_b32 v2, 0x1ff, v1, v0
	v_lshrrev_b32_e32 v3, 8, v1
	v_bfe_u32 v6, v1, 20, 11
	v_cmp_ne_u32_e32 vcc_lo, 0, v2
	v_sub_nc_u32_e32 v7, 0x3f1, v6
	v_add_nc_u32_e32 v6, 0xfffffc10, v6
	v_cndmask_b32_e64 v2, 0, 1, vcc_lo
	v_and_or_b32 v2, 0xffe, v3, v2
	v_med3_i32 v3, v7, 0, 13
	v_or_b32_e32 v7, 0x1000, v2
	v_lshrrev_b32_e32 v8, v3, v7
	v_lshlrev_b32_e32 v3, v3, v8
	v_cmp_ne_u32_e32 vcc_lo, v3, v7
	v_lshl_or_b32 v7, v6, 12, v2
	v_cndmask_b32_e64 v3, 0, 1, vcc_lo
	v_cmp_gt_i32_e32 vcc_lo, 1, v6
	v_or_b32_e32 v3, v8, v3
	v_cndmask_b32_e32 v3, v7, v3, vcc_lo
	v_and_b32_e32 v7, 7, v3
	v_lshrrev_b32_e32 v3, 2, v3
	v_cmp_lt_i32_e32 vcc_lo, 5, v7
	v_cndmask_b32_e64 v8, 0, 1, vcc_lo
	v_cmp_eq_u32_e32 vcc_lo, 3, v7
	v_cndmask_b32_e64 v7, 0, 1, vcc_lo
	v_cmp_ne_u32_e32 vcc_lo, 0, v2
	v_or_b32_e32 v7, v7, v8
	v_mov_b32_e32 v8, 0x7e00
	v_add_nc_u32_e32 v3, v3, v7
	v_cndmask_b32_e32 v2, 0x7c00, v8, vcc_lo
	v_cmp_gt_i32_e32 vcc_lo, 31, v6
	v_cndmask_b32_e32 v3, 0x7c00, v3, vcc_lo
	v_cmp_eq_u32_e32 vcc_lo, 0x40f, v6
	v_cndmask_b32_e32 v2, v3, v2, vcc_lo
	v_lshrrev_b32_e32 v3, 16, v1
	v_and_or_b32 v2, 0x8000, v3, v2
	global_store_short v[4:5], v2, off
.LBB7_381:
	s_mov_b32 s6, 0
.LBB7_382:
	s_andn2_b32 vcc_lo, exec_lo, s6
	s_cbranch_vccnz .LBB7_398
; %bb.383:
	s_cmp_lt_i32 s5, 2
	s_mov_b32 s6, -1
	s_cbranch_scc1 .LBB7_393
; %bb.384:
	s_cmp_lt_i32 s5, 3
	s_cbranch_scc1 .LBB7_390
; %bb.385:
	s_cmp_gt_i32 s5, 3
	s_cbranch_scc0 .LBB7_387
; %bb.386:
	v_trunc_f64_e32 v[2:3], v[0:1]
	s_mov_b32 s6, 0
	v_ldexp_f64 v[6:7], v[2:3], 0xffffffe0
	v_floor_f64_e32 v[6:7], v[6:7]
	v_fma_f64 v[2:3], 0xc1f00000, v[6:7], v[2:3]
	v_cvt_i32_f64_e32 v7, v[6:7]
	v_cvt_u32_f64_e32 v6, v[2:3]
	global_store_dwordx2 v[4:5], v[6:7], off
.LBB7_387:
	s_andn2_b32 vcc_lo, exec_lo, s6
	s_cbranch_vccnz .LBB7_389
; %bb.388:
	v_cvt_i32_f64_e32 v2, v[0:1]
	global_store_dword v[4:5], v2, off
.LBB7_389:
	s_mov_b32 s6, 0
.LBB7_390:
	s_andn2_b32 vcc_lo, exec_lo, s6
	s_cbranch_vccnz .LBB7_392
; %bb.391:
	v_cvt_i32_f64_e32 v2, v[0:1]
	global_store_short v[4:5], v2, off
.LBB7_392:
	s_mov_b32 s6, 0
.LBB7_393:
	s_andn2_b32 vcc_lo, exec_lo, s6
	s_cbranch_vccnz .LBB7_398
; %bb.394:
	s_cmp_gt_i32 s5, 0
	s_mov_b32 s5, -1
	s_cbranch_scc0 .LBB7_396
; %bb.395:
	v_cvt_i32_f64_e32 v2, v[0:1]
	s_mov_b32 s5, 0
	global_store_byte v[4:5], v2, off
.LBB7_396:
	s_andn2_b32 vcc_lo, exec_lo, s5
	s_cbranch_vccnz .LBB7_398
; %bb.397:
	v_trunc_f64_e32 v[0:1], v[0:1]
	v_ldexp_f64 v[2:3], v[0:1], 0xffffffe0
	v_floor_f64_e32 v[2:3], v[2:3]
	v_fma_f64 v[0:1], 0xc1f00000, v[2:3], v[0:1]
	v_cvt_u32_f64_e32 v0, v[0:1]
	global_store_byte v[4:5], v0, off
.LBB7_398:
	s_mov_b32 s7, -1
.LBB7_399:
	s_andn2_b32 vcc_lo, exec_lo, s7
	s_cbranch_vccnz .LBB7_401
; %bb.400:
	v_add_nc_u32_e32 v46, 0x80, v46
	s_mov_b32 s5, -1
	s_branch .LBB7_514
.LBB7_401:
	s_mov_b32 s5, 0
	s_branch .LBB7_513
.LBB7_402:
	s_mov_b32 s43, -1
                                        ; implicit-def: $vgpr0_vgpr1
.LBB7_403:
	s_mov_b32 s6, 0
.LBB7_404:
	s_and_b32 vcc_lo, exec_lo, s6
	s_cbranch_vccz .LBB7_408
; %bb.405:
	s_cmp_eq_u32 s4, 29
	s_cbranch_scc0 .LBB7_407
; %bb.406:
	global_load_dwordx2 v[0:1], v[2:3], off
	s_mov_b32 s5, -1
	s_mov_b32 s43, 0
	s_mov_b32 s6, 0
	s_waitcnt vmcnt(0)
	v_cvt_f64_u32_e32 v[4:5], v1
	v_cvt_f64_u32_e32 v[0:1], v0
	v_ldexp_f64 v[4:5], v[4:5], 32
	v_add_f64 v[0:1], v[4:5], v[0:1]
	s_branch .LBB7_409
.LBB7_407:
	s_mov_b32 s43, -1
                                        ; implicit-def: $vgpr0_vgpr1
.LBB7_408:
	s_mov_b32 s6, 0
.LBB7_409:
	s_and_b32 vcc_lo, exec_lo, s6
	s_cbranch_vccz .LBB7_429
; %bb.410:
	s_cmp_lt_i32 s4, 27
	s_cbranch_scc1 .LBB7_413
; %bb.411:
	s_cmp_gt_i32 s4, 27
	s_cbranch_scc0 .LBB7_414
; %bb.412:
	global_load_dword v0, v[2:3], off
	s_mov_b32 s5, 0
	s_waitcnt vmcnt(0)
	v_cvt_f64_u32_e32 v[0:1], v0
	s_branch .LBB7_415
.LBB7_413:
	s_mov_b32 s5, -1
                                        ; implicit-def: $vgpr0_vgpr1
	s_branch .LBB7_418
.LBB7_414:
	s_mov_b32 s5, -1
                                        ; implicit-def: $vgpr0_vgpr1
.LBB7_415:
	s_andn2_b32 vcc_lo, exec_lo, s5
	s_cbranch_vccnz .LBB7_417
; %bb.416:
	global_load_ushort v0, v[2:3], off
	s_waitcnt vmcnt(0)
	v_cvt_f64_u32_e32 v[0:1], v0
.LBB7_417:
	s_mov_b32 s5, 0
.LBB7_418:
	s_andn2_b32 vcc_lo, exec_lo, s5
	s_cbranch_vccnz .LBB7_428
; %bb.419:
	global_load_ubyte v4, v[2:3], off
	s_mov_b32 s5, 0
	s_mov_b32 s6, exec_lo
	s_waitcnt vmcnt(0)
	v_cmpx_lt_i16_e32 0x7f, v4
	s_xor_b32 s6, exec_lo, s6
	s_cbranch_execz .LBB7_423
; %bb.420:
	s_mov_b32 s5, -1
	s_mov_b32 s7, exec_lo
	v_cmpx_eq_u16_e32 0x80, v4
; %bb.421:
	s_xor_b32 s5, exec_lo, -1
; %bb.422:
	s_or_b32 exec_lo, exec_lo, s7
	s_and_b32 s5, s5, exec_lo
.LBB7_423:
	s_or_saveexec_b32 s6, s6
	v_bfrev_b32_e32 v0, 4
	v_mov_b32_e32 v1, 0x7ff80000
	s_xor_b32 exec_lo, exec_lo, s6
; %bb.424:
	v_cmp_ne_u16_e32 vcc_lo, 0, v4
	v_mov_b32_e32 v0, 0
	v_mov_b32_e32 v1, 0
	s_andn2_b32 s5, s5, exec_lo
	s_and_b32 s7, vcc_lo, exec_lo
	s_or_b32 s5, s5, s7
; %bb.425:
	s_or_b32 exec_lo, exec_lo, s6
	s_and_saveexec_b32 s6, s5
	s_cbranch_execz .LBB7_427
; %bb.426:
	v_and_b32_e32 v0, 0xffff, v4
	v_lshlrev_b32_e32 v4, 24, v4
	v_and_b32_e32 v1, 7, v0
	v_bfe_u32 v7, v0, 3, 4
	v_ffbh_u32_e32 v5, v1
	v_cmp_eq_u32_e32 vcc_lo, 0, v7
	v_min_u32_e32 v5, 32, v5
	v_subrev_nc_u32_e32 v6, 28, v5
	v_sub_nc_u32_e32 v5, 29, v5
	v_lshlrev_b32_e32 v0, v6, v0
	v_cndmask_b32_e32 v5, v7, v5, vcc_lo
	v_and_b32_e32 v0, 7, v0
	v_cndmask_b32_e32 v0, v1, v0, vcc_lo
	v_and_b32_e32 v1, 0x80000000, v4
	v_lshl_add_u32 v4, v5, 23, 0x3b800000
	v_lshlrev_b32_e32 v0, 20, v0
	v_or3_b32 v0, v1, v4, v0
	v_cvt_f64_f32_e32 v[0:1], v0
.LBB7_427:
	s_or_b32 exec_lo, exec_lo, s6
.LBB7_428:
	s_mov_b32 s5, -1
.LBB7_429:
	s_mov_b32 s6, 0
.LBB7_430:
	s_and_b32 vcc_lo, exec_lo, s6
	s_cbranch_vccz .LBB7_463
; %bb.431:
	s_cmp_gt_i32 s4, 22
	s_cbranch_scc0 .LBB7_443
; %bb.432:
	s_cmp_lt_i32 s4, 24
	s_cbranch_scc1 .LBB7_444
; %bb.433:
	s_cmp_gt_i32 s4, 24
	s_cbranch_scc0 .LBB7_445
; %bb.434:
	global_load_ubyte v4, v[2:3], off
	s_mov_b32 s5, 0
	s_mov_b32 s6, exec_lo
	s_waitcnt vmcnt(0)
	v_cmpx_lt_i16_e32 0x7f, v4
	s_xor_b32 s6, exec_lo, s6
	s_cbranch_execz .LBB7_438
; %bb.435:
	s_mov_b32 s5, -1
	s_mov_b32 s7, exec_lo
	v_cmpx_eq_u16_e32 0x80, v4
; %bb.436:
	s_xor_b32 s5, exec_lo, -1
; %bb.437:
	s_or_b32 exec_lo, exec_lo, s7
	s_and_b32 s5, s5, exec_lo
.LBB7_438:
	s_or_saveexec_b32 s6, s6
	v_bfrev_b32_e32 v0, 4
	v_mov_b32_e32 v1, 0x7ff80000
	s_xor_b32 exec_lo, exec_lo, s6
; %bb.439:
	v_cmp_ne_u16_e32 vcc_lo, 0, v4
	v_mov_b32_e32 v0, 0
	v_mov_b32_e32 v1, 0
	s_andn2_b32 s5, s5, exec_lo
	s_and_b32 s7, vcc_lo, exec_lo
	s_or_b32 s5, s5, s7
; %bb.440:
	s_or_b32 exec_lo, exec_lo, s6
	s_and_saveexec_b32 s6, s5
	s_cbranch_execz .LBB7_442
; %bb.441:
	v_and_b32_e32 v0, 0xffff, v4
	v_lshlrev_b32_e32 v4, 24, v4
	v_and_b32_e32 v1, 3, v0
	v_bfe_u32 v7, v0, 2, 5
	v_ffbh_u32_e32 v5, v1
	v_cmp_eq_u32_e32 vcc_lo, 0, v7
	v_min_u32_e32 v5, 32, v5
	v_subrev_nc_u32_e32 v6, 29, v5
	v_sub_nc_u32_e32 v5, 30, v5
	v_lshlrev_b32_e32 v0, v6, v0
	v_cndmask_b32_e32 v5, v7, v5, vcc_lo
	v_and_b32_e32 v0, 3, v0
	v_cndmask_b32_e32 v0, v1, v0, vcc_lo
	v_and_b32_e32 v1, 0x80000000, v4
	v_lshl_add_u32 v4, v5, 23, 0x37800000
	v_lshlrev_b32_e32 v0, 21, v0
	v_or3_b32 v0, v1, v4, v0
	v_cvt_f64_f32_e32 v[0:1], v0
.LBB7_442:
	s_or_b32 exec_lo, exec_lo, s6
	s_mov_b32 s5, 0
	s_branch .LBB7_446
.LBB7_443:
	s_mov_b32 s6, -1
                                        ; implicit-def: $vgpr0_vgpr1
	s_branch .LBB7_452
.LBB7_444:
	s_mov_b32 s5, -1
                                        ; implicit-def: $vgpr0_vgpr1
	s_branch .LBB7_449
.LBB7_445:
	s_mov_b32 s5, -1
                                        ; implicit-def: $vgpr0_vgpr1
.LBB7_446:
	s_and_b32 vcc_lo, exec_lo, s5
	s_cbranch_vccz .LBB7_448
; %bb.447:
	global_load_ubyte v0, v[2:3], off
	s_waitcnt vmcnt(0)
	v_lshlrev_b32_e32 v0, 24, v0
	v_and_b32_e32 v1, 0x7f000000, v0
	v_ffbh_u32_e32 v4, v1
	v_add_nc_u32_e32 v6, 0x1000000, v1
	v_cmp_ne_u32_e32 vcc_lo, 0, v1
	v_min_u32_e32 v4, 32, v4
	v_sub_nc_u32_e64 v4, v4, 4 clamp
	v_lshlrev_b32_e32 v5, v4, v1
	v_lshlrev_b32_e32 v4, 23, v4
	v_lshrrev_b32_e32 v5, 4, v5
	v_sub_nc_u32_e32 v4, v5, v4
	v_ashrrev_i32_e32 v5, 8, v6
	v_add_nc_u32_e32 v4, 0x3c000000, v4
	v_and_or_b32 v4, 0x7f800000, v5, v4
	v_cndmask_b32_e32 v1, 0, v4, vcc_lo
	v_and_or_b32 v0, 0x80000000, v0, v1
	v_cvt_f64_f32_e32 v[0:1], v0
.LBB7_448:
	s_mov_b32 s5, 0
.LBB7_449:
	s_andn2_b32 vcc_lo, exec_lo, s5
	s_cbranch_vccnz .LBB7_451
; %bb.450:
	global_load_ubyte v0, v[2:3], off
	s_waitcnt vmcnt(0)
	v_lshlrev_b32_e32 v1, 25, v0
	v_lshlrev_b16 v0, 8, v0
	v_lshrrev_b32_e32 v4, 4, v1
	v_and_or_b32 v5, 0x7f00, v0, 0.5
	v_cmp_gt_u32_e32 vcc_lo, 0x8000000, v1
	v_bfe_i32 v0, v0, 0, 16
	v_or_b32_e32 v4, 0x70000000, v4
	v_add_f32_e32 v5, -0.5, v5
	v_mul_f32_e32 v4, 0x7800000, v4
	v_cndmask_b32_e32 v1, v4, v5, vcc_lo
	v_and_or_b32 v0, 0x80000000, v0, v1
	v_cvt_f64_f32_e32 v[0:1], v0
.LBB7_451:
	s_mov_b32 s6, 0
	s_mov_b32 s5, -1
.LBB7_452:
	s_andn2_b32 vcc_lo, exec_lo, s6
	s_cbranch_vccnz .LBB7_463
; %bb.453:
	s_cmp_gt_i32 s4, 14
	s_cbranch_scc0 .LBB7_456
; %bb.454:
	s_cmp_eq_u32 s4, 15
	s_cbranch_scc0 .LBB7_457
; %bb.455:
	global_load_ushort v0, v[2:3], off
	s_mov_b32 s5, -1
	s_mov_b32 s43, 0
	s_waitcnt vmcnt(0)
	v_lshlrev_b32_e32 v0, 16, v0
	v_cvt_f64_f32_e32 v[0:1], v0
	s_branch .LBB7_458
.LBB7_456:
	s_mov_b32 s6, -1
                                        ; implicit-def: $vgpr0_vgpr1
	s_branch .LBB7_459
.LBB7_457:
	s_mov_b32 s43, -1
                                        ; implicit-def: $vgpr0_vgpr1
.LBB7_458:
	s_mov_b32 s6, 0
.LBB7_459:
	s_and_b32 vcc_lo, exec_lo, s6
	s_cbranch_vccz .LBB7_463
; %bb.460:
	s_cmp_eq_u32 s4, 11
	s_cbranch_scc0 .LBB7_462
; %bb.461:
	global_load_ubyte v0, v[2:3], off
	s_mov_b32 s43, 0
	s_mov_b32 s5, -1
	s_waitcnt vmcnt(0)
	v_cmp_ne_u16_e32 vcc_lo, 0, v0
	v_mov_b32_e32 v0, 0
	v_cndmask_b32_e64 v1, 0, 0x3ff00000, vcc_lo
	s_branch .LBB7_463
.LBB7_462:
	s_mov_b32 s43, -1
                                        ; implicit-def: $vgpr0_vgpr1
.LBB7_463:
	s_branch .LBB7_265
.LBB7_464:
	s_cmp_lt_i32 s4, 5
	s_cbranch_scc1 .LBB7_469
; %bb.465:
	s_cmp_lt_i32 s4, 8
	s_cbranch_scc1 .LBB7_470
; %bb.466:
	;; [unrolled: 3-line block ×3, first 2 shown]
	s_cmp_gt_i32 s4, 9
	s_cbranch_scc0 .LBB7_472
; %bb.468:
	global_load_dwordx2 v[0:1], v[2:3], off
	s_mov_b32 s5, 0
	s_branch .LBB7_473
.LBB7_469:
	s_mov_b32 s5, -1
                                        ; implicit-def: $vgpr0_vgpr1
	s_branch .LBB7_491
.LBB7_470:
	s_mov_b32 s5, -1
                                        ; implicit-def: $vgpr0_vgpr1
	s_branch .LBB7_479
.LBB7_471:
	s_mov_b32 s5, -1
                                        ; implicit-def: $vgpr0_vgpr1
	s_branch .LBB7_476
.LBB7_472:
	s_mov_b32 s5, -1
                                        ; implicit-def: $vgpr0_vgpr1
.LBB7_473:
	s_andn2_b32 vcc_lo, exec_lo, s5
	s_cbranch_vccnz .LBB7_475
; %bb.474:
	global_load_dword v0, v[2:3], off
	s_waitcnt vmcnt(0)
	v_cvt_f64_f32_e32 v[0:1], v0
.LBB7_475:
	s_mov_b32 s5, 0
.LBB7_476:
	s_andn2_b32 vcc_lo, exec_lo, s5
	s_cbranch_vccnz .LBB7_478
; %bb.477:
	global_load_dword v0, v[2:3], off
	s_waitcnt vmcnt(0)
	v_cvt_f32_f16_e32 v0, v0
	v_cvt_f64_f32_e32 v[0:1], v0
.LBB7_478:
	s_mov_b32 s5, 0
.LBB7_479:
	s_andn2_b32 vcc_lo, exec_lo, s5
	s_cbranch_vccnz .LBB7_490
; %bb.480:
	s_cmp_lt_i32 s4, 6
	s_cbranch_scc1 .LBB7_483
; %bb.481:
	s_cmp_gt_i32 s4, 6
	s_cbranch_scc0 .LBB7_484
; %bb.482:
	global_load_dwordx2 v[0:1], v[2:3], off
	s_mov_b32 s5, 0
	s_branch .LBB7_485
.LBB7_483:
	s_mov_b32 s5, -1
                                        ; implicit-def: $vgpr0_vgpr1
	s_branch .LBB7_488
.LBB7_484:
	s_mov_b32 s5, -1
                                        ; implicit-def: $vgpr0_vgpr1
.LBB7_485:
	s_andn2_b32 vcc_lo, exec_lo, s5
	s_cbranch_vccnz .LBB7_487
; %bb.486:
	global_load_dword v0, v[2:3], off
	s_waitcnt vmcnt(0)
	v_cvt_f64_f32_e32 v[0:1], v0
.LBB7_487:
	s_mov_b32 s5, 0
.LBB7_488:
	s_andn2_b32 vcc_lo, exec_lo, s5
	s_cbranch_vccnz .LBB7_490
; %bb.489:
	global_load_ushort v0, v[2:3], off
	s_waitcnt vmcnt(0)
	v_cvt_f32_f16_e32 v0, v0
	v_cvt_f64_f32_e32 v[0:1], v0
.LBB7_490:
	s_mov_b32 s5, 0
.LBB7_491:
	s_andn2_b32 vcc_lo, exec_lo, s5
	s_cbranch_vccnz .LBB7_511
; %bb.492:
	s_cmp_lt_i32 s4, 2
	s_cbranch_scc1 .LBB7_496
; %bb.493:
	s_cmp_lt_i32 s4, 3
	s_cbranch_scc1 .LBB7_497
; %bb.494:
	s_cmp_gt_i32 s4, 3
	s_cbranch_scc0 .LBB7_498
; %bb.495:
	global_load_dwordx2 v[0:1], v[2:3], off
	s_mov_b32 s5, 0
	s_waitcnt vmcnt(0)
	v_cvt_f64_i32_e32 v[4:5], v1
	v_cvt_f64_u32_e32 v[0:1], v0
	v_ldexp_f64 v[4:5], v[4:5], 32
	v_add_f64 v[0:1], v[4:5], v[0:1]
	s_branch .LBB7_499
.LBB7_496:
	s_mov_b32 s5, -1
                                        ; implicit-def: $vgpr0_vgpr1
	s_branch .LBB7_505
.LBB7_497:
	s_mov_b32 s5, -1
                                        ; implicit-def: $vgpr0_vgpr1
	s_branch .LBB7_502
.LBB7_498:
	s_mov_b32 s5, -1
                                        ; implicit-def: $vgpr0_vgpr1
.LBB7_499:
	s_andn2_b32 vcc_lo, exec_lo, s5
	s_cbranch_vccnz .LBB7_501
; %bb.500:
	global_load_dword v0, v[2:3], off
	s_waitcnt vmcnt(0)
	v_cvt_f64_i32_e32 v[0:1], v0
.LBB7_501:
	s_mov_b32 s5, 0
.LBB7_502:
	s_andn2_b32 vcc_lo, exec_lo, s5
	s_cbranch_vccnz .LBB7_504
; %bb.503:
	global_load_sshort v0, v[2:3], off
	s_waitcnt vmcnt(0)
	v_cvt_f64_i32_e32 v[0:1], v0
.LBB7_504:
	s_mov_b32 s5, 0
.LBB7_505:
	s_andn2_b32 vcc_lo, exec_lo, s5
	s_cbranch_vccnz .LBB7_511
; %bb.506:
	s_cmp_gt_i32 s4, 0
	s_mov_b32 s4, 0
	s_cbranch_scc0 .LBB7_508
; %bb.507:
	global_load_sbyte v0, v[2:3], off
	s_waitcnt vmcnt(0)
	v_cvt_f64_i32_e32 v[0:1], v0
	s_branch .LBB7_509
.LBB7_508:
	s_mov_b32 s4, -1
                                        ; implicit-def: $vgpr0_vgpr1
.LBB7_509:
	s_andn2_b32 vcc_lo, exec_lo, s4
	s_cbranch_vccnz .LBB7_511
; %bb.510:
	global_load_ubyte v0, v[2:3], off
	s_waitcnt vmcnt(0)
	v_cvt_f64_u32_e32 v[0:1], v0
.LBB7_511:
	s_branch .LBB7_266
.LBB7_512:
	s_mov_b32 s5, 0
	s_mov_b32 s4, s35
.LBB7_513:
                                        ; implicit-def: $vgpr46
.LBB7_514:
	s_andn2_b32 s6, s35, exec_lo
	s_and_b32 s4, s4, exec_lo
	s_andn2_b32 s7, s41, exec_lo
	s_and_b32 s8, s43, exec_lo
	s_or_b32 s44, s6, s4
	s_or_b32 s43, s7, s8
	s_orn2_b32 s4, s5, exec_lo
.LBB7_515:
	s_or_b32 exec_lo, exec_lo, s45
	s_mov_b32 s5, 0
	s_mov_b32 s6, 0
	;; [unrolled: 1-line block ×3, first 2 shown]
                                        ; implicit-def: $vgpr0_vgpr1
                                        ; implicit-def: $vgpr2_vgpr3
	s_and_saveexec_b32 s45, s4
	s_cbranch_execz .LBB7_862
; %bb.516:
	s_mov_b32 s10, -1
	s_mov_b32 s4, s43
	s_mov_b32 s5, s44
	s_mov_b32 s46, exec_lo
	v_cmpx_gt_i32_e64 s40, v46
	s_cbranch_execz .LBB7_776
; %bb.517:
	s_waitcnt vmcnt(0)
	v_mul_lo_u32 v0, v46, s27
	s_and_b32 s4, 0xffff, s33
	s_cmp_lt_i32 s4, 11
	v_ashrrev_i32_e32 v1, 31, v0
	v_add_co_u32 v2, vcc_lo, s38, v0
	v_add_co_ci_u32_e64 v3, null, s39, v1, vcc_lo
	s_cbranch_scc1 .LBB7_524
; %bb.518:
	s_cmp_gt_i32 s4, 25
	s_cbranch_scc0 .LBB7_525
; %bb.519:
	s_cmp_gt_i32 s4, 28
	s_cbranch_scc0 .LBB7_526
	;; [unrolled: 3-line block ×4, first 2 shown]
; %bb.522:
	s_cmp_eq_u32 s4, 46
	s_cbranch_scc0 .LBB7_533
; %bb.523:
	global_load_dword v0, v[2:3], off
	s_mov_b32 s5, -1
	s_mov_b32 s47, 0
	s_waitcnt vmcnt(0)
	v_lshlrev_b32_e32 v0, 16, v0
	v_cvt_f64_f32_e32 v[0:1], v0
	s_branch .LBB7_535
.LBB7_524:
	s_mov_b32 s6, -1
	s_mov_b32 s5, 0
	s_mov_b32 s47, s43
                                        ; implicit-def: $vgpr0_vgpr1
	s_branch .LBB7_600
.LBB7_525:
	s_mov_b32 s6, -1
	s_mov_b32 s5, 0
	s_mov_b32 s47, s43
                                        ; implicit-def: $vgpr0_vgpr1
	s_branch .LBB7_566
.LBB7_526:
	s_mov_b32 s6, -1
	s_mov_b32 s5, 0
	s_mov_b32 s47, s43
                                        ; implicit-def: $vgpr0_vgpr1
	s_branch .LBB7_545
.LBB7_527:
	s_mov_b32 s6, -1
	s_mov_b32 s5, 0
	s_mov_b32 s47, s43
                                        ; implicit-def: $vgpr0_vgpr1
	s_branch .LBB7_540
.LBB7_528:
	s_andn2_saveexec_b32 s9, s9
	s_cbranch_execz .LBB7_312
.LBB7_529:
	v_add_f32_e64 v3, 0x46000000, |v2|
	s_andn2_b32 s8, s8, exec_lo
	v_and_b32_e32 v3, 0xff, v3
	v_cmp_ne_u32_e32 vcc_lo, 0, v3
	s_and_b32 s10, vcc_lo, exec_lo
	s_or_b32 s8, s8, s10
	s_or_b32 exec_lo, exec_lo, s9
	v_mov_b32_e32 v6, 0
	s_and_saveexec_b32 s9, s8
	s_cbranch_execnz .LBB7_313
	s_branch .LBB7_314
.LBB7_530:
	s_mov_b32 s6, -1
	s_mov_b32 s5, 0
	s_mov_b32 s47, s43
	s_branch .LBB7_534
.LBB7_531:
	s_andn2_saveexec_b32 s9, s9
	s_cbranch_execz .LBB7_325
.LBB7_532:
	v_add_f32_e64 v3, 0x42800000, |v2|
	s_andn2_b32 s8, s8, exec_lo
	v_and_b32_e32 v3, 0xff, v3
	v_cmp_ne_u32_e32 vcc_lo, 0, v3
	s_and_b32 s10, vcc_lo, exec_lo
	s_or_b32 s8, s8, s10
	s_or_b32 exec_lo, exec_lo, s9
	v_mov_b32_e32 v6, 0
	s_and_saveexec_b32 s9, s8
	s_cbranch_execnz .LBB7_326
	s_branch .LBB7_327
.LBB7_533:
	s_mov_b32 s47, -1
	s_mov_b32 s5, 0
.LBB7_534:
                                        ; implicit-def: $vgpr0_vgpr1
.LBB7_535:
	s_and_b32 vcc_lo, exec_lo, s6
	s_cbranch_vccz .LBB7_539
; %bb.536:
	s_cmp_eq_u32 s4, 44
	s_cbranch_scc0 .LBB7_538
; %bb.537:
	global_load_ubyte v4, v[2:3], off
	s_mov_b32 s47, 0
	s_mov_b32 s5, -1
	s_waitcnt vmcnt(0)
	v_lshlrev_b32_e32 v0, 23, v4
	v_cmp_ne_u32_e32 vcc_lo, 0xff, v4
	v_cvt_f64_f32_e32 v[0:1], v0
	v_cndmask_b32_e32 v0, 0x20000000, v0, vcc_lo
	v_cndmask_b32_e32 v1, 0x7ff80000, v1, vcc_lo
	v_cmp_ne_u32_e32 vcc_lo, 0, v4
	v_cndmask_b32_e32 v1, 0x38000000, v1, vcc_lo
	v_cndmask_b32_e32 v0, 0, v0, vcc_lo
	s_branch .LBB7_539
.LBB7_538:
	s_mov_b32 s47, -1
                                        ; implicit-def: $vgpr0_vgpr1
.LBB7_539:
	s_mov_b32 s6, 0
.LBB7_540:
	s_and_b32 vcc_lo, exec_lo, s6
	s_cbranch_vccz .LBB7_544
; %bb.541:
	s_cmp_eq_u32 s4, 29
	s_cbranch_scc0 .LBB7_543
; %bb.542:
	global_load_dwordx2 v[0:1], v[2:3], off
	s_mov_b32 s5, -1
	s_mov_b32 s47, 0
	s_mov_b32 s6, 0
	s_waitcnt vmcnt(0)
	v_cvt_f64_u32_e32 v[4:5], v1
	v_cvt_f64_u32_e32 v[0:1], v0
	v_ldexp_f64 v[4:5], v[4:5], 32
	v_add_f64 v[0:1], v[4:5], v[0:1]
	s_branch .LBB7_545
.LBB7_543:
	s_mov_b32 s47, -1
                                        ; implicit-def: $vgpr0_vgpr1
.LBB7_544:
	s_mov_b32 s6, 0
.LBB7_545:
	s_and_b32 vcc_lo, exec_lo, s6
	s_cbranch_vccz .LBB7_565
; %bb.546:
	s_cmp_lt_i32 s4, 27
	s_cbranch_scc1 .LBB7_549
; %bb.547:
	s_cmp_gt_i32 s4, 27
	s_cbranch_scc0 .LBB7_550
; %bb.548:
	global_load_dword v0, v[2:3], off
	s_mov_b32 s5, 0
	s_waitcnt vmcnt(0)
	v_cvt_f64_u32_e32 v[0:1], v0
	s_branch .LBB7_551
.LBB7_549:
	s_mov_b32 s5, -1
                                        ; implicit-def: $vgpr0_vgpr1
	s_branch .LBB7_554
.LBB7_550:
	s_mov_b32 s5, -1
                                        ; implicit-def: $vgpr0_vgpr1
.LBB7_551:
	s_andn2_b32 vcc_lo, exec_lo, s5
	s_cbranch_vccnz .LBB7_553
; %bb.552:
	global_load_ushort v0, v[2:3], off
	s_waitcnt vmcnt(0)
	v_cvt_f64_u32_e32 v[0:1], v0
.LBB7_553:
	s_mov_b32 s5, 0
.LBB7_554:
	s_andn2_b32 vcc_lo, exec_lo, s5
	s_cbranch_vccnz .LBB7_564
; %bb.555:
	global_load_ubyte v4, v[2:3], off
	s_mov_b32 s5, 0
	s_mov_b32 s6, exec_lo
	s_waitcnt vmcnt(0)
	v_cmpx_lt_i16_e32 0x7f, v4
	s_xor_b32 s6, exec_lo, s6
	s_cbranch_execz .LBB7_559
; %bb.556:
	s_mov_b32 s5, -1
	s_mov_b32 s7, exec_lo
	v_cmpx_eq_u16_e32 0x80, v4
; %bb.557:
	s_xor_b32 s5, exec_lo, -1
; %bb.558:
	s_or_b32 exec_lo, exec_lo, s7
	s_and_b32 s5, s5, exec_lo
.LBB7_559:
	s_or_saveexec_b32 s6, s6
	v_bfrev_b32_e32 v0, 4
	v_mov_b32_e32 v1, 0x7ff80000
	s_xor_b32 exec_lo, exec_lo, s6
; %bb.560:
	v_cmp_ne_u16_e32 vcc_lo, 0, v4
	v_mov_b32_e32 v0, 0
	v_mov_b32_e32 v1, 0
	s_andn2_b32 s5, s5, exec_lo
	s_and_b32 s7, vcc_lo, exec_lo
	s_or_b32 s5, s5, s7
; %bb.561:
	s_or_b32 exec_lo, exec_lo, s6
	s_and_saveexec_b32 s6, s5
	s_cbranch_execz .LBB7_563
; %bb.562:
	v_and_b32_e32 v0, 0xffff, v4
	v_lshlrev_b32_e32 v4, 24, v4
	v_and_b32_e32 v1, 7, v0
	v_bfe_u32 v7, v0, 3, 4
	v_ffbh_u32_e32 v5, v1
	v_cmp_eq_u32_e32 vcc_lo, 0, v7
	v_min_u32_e32 v5, 32, v5
	v_subrev_nc_u32_e32 v6, 28, v5
	v_sub_nc_u32_e32 v5, 29, v5
	v_lshlrev_b32_e32 v0, v6, v0
	v_cndmask_b32_e32 v5, v7, v5, vcc_lo
	v_and_b32_e32 v0, 7, v0
	v_cndmask_b32_e32 v0, v1, v0, vcc_lo
	v_and_b32_e32 v1, 0x80000000, v4
	v_lshl_add_u32 v4, v5, 23, 0x3b800000
	v_lshlrev_b32_e32 v0, 20, v0
	v_or3_b32 v0, v1, v4, v0
	v_cvt_f64_f32_e32 v[0:1], v0
.LBB7_563:
	s_or_b32 exec_lo, exec_lo, s6
.LBB7_564:
	s_mov_b32 s5, -1
.LBB7_565:
	s_mov_b32 s6, 0
.LBB7_566:
	s_and_b32 vcc_lo, exec_lo, s6
	s_cbranch_vccz .LBB7_599
; %bb.567:
	s_cmp_gt_i32 s4, 22
	s_cbranch_scc0 .LBB7_579
; %bb.568:
	s_cmp_lt_i32 s4, 24
	s_cbranch_scc1 .LBB7_580
; %bb.569:
	s_cmp_gt_i32 s4, 24
	s_cbranch_scc0 .LBB7_581
; %bb.570:
	global_load_ubyte v4, v[2:3], off
	s_mov_b32 s5, 0
	s_mov_b32 s6, exec_lo
	s_waitcnt vmcnt(0)
	v_cmpx_lt_i16_e32 0x7f, v4
	s_xor_b32 s6, exec_lo, s6
	s_cbranch_execz .LBB7_574
; %bb.571:
	s_mov_b32 s5, -1
	s_mov_b32 s7, exec_lo
	v_cmpx_eq_u16_e32 0x80, v4
; %bb.572:
	s_xor_b32 s5, exec_lo, -1
; %bb.573:
	s_or_b32 exec_lo, exec_lo, s7
	s_and_b32 s5, s5, exec_lo
.LBB7_574:
	s_or_saveexec_b32 s6, s6
	v_bfrev_b32_e32 v0, 4
	v_mov_b32_e32 v1, 0x7ff80000
	s_xor_b32 exec_lo, exec_lo, s6
; %bb.575:
	v_cmp_ne_u16_e32 vcc_lo, 0, v4
	v_mov_b32_e32 v0, 0
	v_mov_b32_e32 v1, 0
	s_andn2_b32 s5, s5, exec_lo
	s_and_b32 s7, vcc_lo, exec_lo
	s_or_b32 s5, s5, s7
; %bb.576:
	s_or_b32 exec_lo, exec_lo, s6
	s_and_saveexec_b32 s6, s5
	s_cbranch_execz .LBB7_578
; %bb.577:
	v_and_b32_e32 v0, 0xffff, v4
	v_lshlrev_b32_e32 v4, 24, v4
	v_and_b32_e32 v1, 3, v0
	v_bfe_u32 v7, v0, 2, 5
	v_ffbh_u32_e32 v5, v1
	v_cmp_eq_u32_e32 vcc_lo, 0, v7
	v_min_u32_e32 v5, 32, v5
	v_subrev_nc_u32_e32 v6, 29, v5
	v_sub_nc_u32_e32 v5, 30, v5
	v_lshlrev_b32_e32 v0, v6, v0
	v_cndmask_b32_e32 v5, v7, v5, vcc_lo
	v_and_b32_e32 v0, 3, v0
	v_cndmask_b32_e32 v0, v1, v0, vcc_lo
	v_and_b32_e32 v1, 0x80000000, v4
	v_lshl_add_u32 v4, v5, 23, 0x37800000
	v_lshlrev_b32_e32 v0, 21, v0
	v_or3_b32 v0, v1, v4, v0
	v_cvt_f64_f32_e32 v[0:1], v0
.LBB7_578:
	s_or_b32 exec_lo, exec_lo, s6
	s_mov_b32 s5, 0
	s_branch .LBB7_582
.LBB7_579:
	s_mov_b32 s6, -1
                                        ; implicit-def: $vgpr0_vgpr1
	s_branch .LBB7_588
.LBB7_580:
	s_mov_b32 s5, -1
                                        ; implicit-def: $vgpr0_vgpr1
	s_branch .LBB7_585
.LBB7_581:
	s_mov_b32 s5, -1
                                        ; implicit-def: $vgpr0_vgpr1
.LBB7_582:
	s_and_b32 vcc_lo, exec_lo, s5
	s_cbranch_vccz .LBB7_584
; %bb.583:
	global_load_ubyte v0, v[2:3], off
	s_waitcnt vmcnt(0)
	v_lshlrev_b32_e32 v0, 24, v0
	v_and_b32_e32 v1, 0x7f000000, v0
	v_ffbh_u32_e32 v4, v1
	v_add_nc_u32_e32 v6, 0x1000000, v1
	v_cmp_ne_u32_e32 vcc_lo, 0, v1
	v_min_u32_e32 v4, 32, v4
	v_sub_nc_u32_e64 v4, v4, 4 clamp
	v_lshlrev_b32_e32 v5, v4, v1
	v_lshlrev_b32_e32 v4, 23, v4
	v_lshrrev_b32_e32 v5, 4, v5
	v_sub_nc_u32_e32 v4, v5, v4
	v_ashrrev_i32_e32 v5, 8, v6
	v_add_nc_u32_e32 v4, 0x3c000000, v4
	v_and_or_b32 v4, 0x7f800000, v5, v4
	v_cndmask_b32_e32 v1, 0, v4, vcc_lo
	v_and_or_b32 v0, 0x80000000, v0, v1
	v_cvt_f64_f32_e32 v[0:1], v0
.LBB7_584:
	s_mov_b32 s5, 0
.LBB7_585:
	s_andn2_b32 vcc_lo, exec_lo, s5
	s_cbranch_vccnz .LBB7_587
; %bb.586:
	global_load_ubyte v0, v[2:3], off
	s_waitcnt vmcnt(0)
	v_lshlrev_b32_e32 v1, 25, v0
	v_lshlrev_b16 v0, 8, v0
	v_lshrrev_b32_e32 v4, 4, v1
	v_and_or_b32 v5, 0x7f00, v0, 0.5
	v_cmp_gt_u32_e32 vcc_lo, 0x8000000, v1
	v_bfe_i32 v0, v0, 0, 16
	v_or_b32_e32 v4, 0x70000000, v4
	v_add_f32_e32 v5, -0.5, v5
	v_mul_f32_e32 v4, 0x7800000, v4
	v_cndmask_b32_e32 v1, v4, v5, vcc_lo
	v_and_or_b32 v0, 0x80000000, v0, v1
	v_cvt_f64_f32_e32 v[0:1], v0
.LBB7_587:
	s_mov_b32 s6, 0
	s_mov_b32 s5, -1
.LBB7_588:
	s_andn2_b32 vcc_lo, exec_lo, s6
	s_cbranch_vccnz .LBB7_599
; %bb.589:
	s_cmp_gt_i32 s4, 14
	s_cbranch_scc0 .LBB7_592
; %bb.590:
	s_cmp_eq_u32 s4, 15
	s_cbranch_scc0 .LBB7_593
; %bb.591:
	global_load_ushort v0, v[2:3], off
	s_mov_b32 s5, -1
	s_mov_b32 s47, 0
	s_waitcnt vmcnt(0)
	v_lshlrev_b32_e32 v0, 16, v0
	v_cvt_f64_f32_e32 v[0:1], v0
	s_branch .LBB7_594
.LBB7_592:
	s_mov_b32 s6, -1
                                        ; implicit-def: $vgpr0_vgpr1
	s_branch .LBB7_595
.LBB7_593:
	s_mov_b32 s47, -1
                                        ; implicit-def: $vgpr0_vgpr1
.LBB7_594:
	s_mov_b32 s6, 0
.LBB7_595:
	s_and_b32 vcc_lo, exec_lo, s6
	s_cbranch_vccz .LBB7_599
; %bb.596:
	s_cmp_eq_u32 s4, 11
	s_cbranch_scc0 .LBB7_598
; %bb.597:
	global_load_ubyte v0, v[2:3], off
	s_mov_b32 s47, 0
	s_mov_b32 s5, -1
	s_waitcnt vmcnt(0)
	v_cmp_ne_u16_e32 vcc_lo, 0, v0
	v_mov_b32_e32 v0, 0
	v_cndmask_b32_e64 v1, 0, 0x3ff00000, vcc_lo
	s_branch .LBB7_599
.LBB7_598:
	s_mov_b32 s47, -1
                                        ; implicit-def: $vgpr0_vgpr1
.LBB7_599:
	s_mov_b32 s6, 0
.LBB7_600:
	s_and_b32 vcc_lo, exec_lo, s6
	s_cbranch_vccz .LBB7_649
; %bb.601:
	s_cmp_lt_i32 s4, 5
	s_cbranch_scc1 .LBB7_606
; %bb.602:
	s_cmp_lt_i32 s4, 8
	s_cbranch_scc1 .LBB7_607
	;; [unrolled: 3-line block ×3, first 2 shown]
; %bb.604:
	s_cmp_gt_i32 s4, 9
	s_cbranch_scc0 .LBB7_609
; %bb.605:
	global_load_dwordx2 v[0:1], v[2:3], off
	s_mov_b32 s5, 0
	s_branch .LBB7_610
.LBB7_606:
	s_mov_b32 s5, -1
                                        ; implicit-def: $vgpr0_vgpr1
	s_branch .LBB7_628
.LBB7_607:
	s_mov_b32 s5, -1
                                        ; implicit-def: $vgpr0_vgpr1
	s_branch .LBB7_616
.LBB7_608:
	s_mov_b32 s5, -1
                                        ; implicit-def: $vgpr0_vgpr1
	s_branch .LBB7_613
.LBB7_609:
	s_mov_b32 s5, -1
                                        ; implicit-def: $vgpr0_vgpr1
.LBB7_610:
	s_andn2_b32 vcc_lo, exec_lo, s5
	s_cbranch_vccnz .LBB7_612
; %bb.611:
	global_load_dword v0, v[2:3], off
	s_waitcnt vmcnt(0)
	v_cvt_f64_f32_e32 v[0:1], v0
.LBB7_612:
	s_mov_b32 s5, 0
.LBB7_613:
	s_andn2_b32 vcc_lo, exec_lo, s5
	s_cbranch_vccnz .LBB7_615
; %bb.614:
	global_load_dword v0, v[2:3], off
	s_waitcnt vmcnt(0)
	v_cvt_f32_f16_e32 v0, v0
	v_cvt_f64_f32_e32 v[0:1], v0
.LBB7_615:
	s_mov_b32 s5, 0
.LBB7_616:
	s_andn2_b32 vcc_lo, exec_lo, s5
	s_cbranch_vccnz .LBB7_627
; %bb.617:
	s_cmp_lt_i32 s4, 6
	s_cbranch_scc1 .LBB7_620
; %bb.618:
	s_cmp_gt_i32 s4, 6
	s_cbranch_scc0 .LBB7_621
; %bb.619:
	global_load_dwordx2 v[0:1], v[2:3], off
	s_mov_b32 s5, 0
	s_branch .LBB7_622
.LBB7_620:
	s_mov_b32 s5, -1
                                        ; implicit-def: $vgpr0_vgpr1
	s_branch .LBB7_625
.LBB7_621:
	s_mov_b32 s5, -1
                                        ; implicit-def: $vgpr0_vgpr1
.LBB7_622:
	s_andn2_b32 vcc_lo, exec_lo, s5
	s_cbranch_vccnz .LBB7_624
; %bb.623:
	global_load_dword v0, v[2:3], off
	s_waitcnt vmcnt(0)
	v_cvt_f64_f32_e32 v[0:1], v0
.LBB7_624:
	s_mov_b32 s5, 0
.LBB7_625:
	s_andn2_b32 vcc_lo, exec_lo, s5
	s_cbranch_vccnz .LBB7_627
; %bb.626:
	global_load_ushort v0, v[2:3], off
	s_waitcnt vmcnt(0)
	v_cvt_f32_f16_e32 v0, v0
	v_cvt_f64_f32_e32 v[0:1], v0
.LBB7_627:
	s_mov_b32 s5, 0
.LBB7_628:
	s_andn2_b32 vcc_lo, exec_lo, s5
	s_cbranch_vccnz .LBB7_648
; %bb.629:
	s_cmp_lt_i32 s4, 2
	s_cbranch_scc1 .LBB7_633
; %bb.630:
	s_cmp_lt_i32 s4, 3
	s_cbranch_scc1 .LBB7_634
; %bb.631:
	s_cmp_gt_i32 s4, 3
	s_cbranch_scc0 .LBB7_635
; %bb.632:
	global_load_dwordx2 v[0:1], v[2:3], off
	s_mov_b32 s5, 0
	s_waitcnt vmcnt(0)
	v_cvt_f64_i32_e32 v[4:5], v1
	v_cvt_f64_u32_e32 v[0:1], v0
	v_ldexp_f64 v[4:5], v[4:5], 32
	v_add_f64 v[0:1], v[4:5], v[0:1]
	s_branch .LBB7_636
.LBB7_633:
	s_mov_b32 s5, -1
                                        ; implicit-def: $vgpr0_vgpr1
	s_branch .LBB7_642
.LBB7_634:
	s_mov_b32 s5, -1
                                        ; implicit-def: $vgpr0_vgpr1
	s_branch .LBB7_639
.LBB7_635:
	s_mov_b32 s5, -1
                                        ; implicit-def: $vgpr0_vgpr1
.LBB7_636:
	s_andn2_b32 vcc_lo, exec_lo, s5
	s_cbranch_vccnz .LBB7_638
; %bb.637:
	global_load_dword v0, v[2:3], off
	s_waitcnt vmcnt(0)
	v_cvt_f64_i32_e32 v[0:1], v0
.LBB7_638:
	s_mov_b32 s5, 0
.LBB7_639:
	s_andn2_b32 vcc_lo, exec_lo, s5
	s_cbranch_vccnz .LBB7_641
; %bb.640:
	global_load_sshort v0, v[2:3], off
	s_waitcnt vmcnt(0)
	v_cvt_f64_i32_e32 v[0:1], v0
.LBB7_641:
	s_mov_b32 s5, 0
.LBB7_642:
	s_andn2_b32 vcc_lo, exec_lo, s5
	s_cbranch_vccnz .LBB7_648
; %bb.643:
	s_cmp_gt_i32 s4, 0
	s_mov_b32 s4, 0
	s_cbranch_scc0 .LBB7_645
; %bb.644:
	global_load_sbyte v0, v[2:3], off
	s_waitcnt vmcnt(0)
	v_cvt_f64_i32_e32 v[0:1], v0
	s_branch .LBB7_646
.LBB7_645:
	s_mov_b32 s4, -1
                                        ; implicit-def: $vgpr0_vgpr1
.LBB7_646:
	s_andn2_b32 vcc_lo, exec_lo, s4
	s_cbranch_vccnz .LBB7_648
; %bb.647:
	global_load_ubyte v0, v[2:3], off
	s_waitcnt vmcnt(0)
	v_cvt_f64_u32_e32 v[0:1], v0
.LBB7_648:
	s_mov_b32 s5, -1
.LBB7_649:
	s_andn2_b32 vcc_lo, exec_lo, s5
	s_cbranch_vccnz .LBB7_657
; %bb.650:
	s_getpc_b64 s[4:5]
	s_add_u32 s4, s4, _ZZZZN2at6native12_GLOBAL__N_121bessel_j1_kernel_cudaERNS_18TensorIteratorBaseEENKUlvE_clEvENKUlvE_clEvENKUldE_clEd@rel32@lo+4
	s_addc_u32 s5, s5, _ZZZZN2at6native12_GLOBAL__N_121bessel_j1_kernel_cudaERNS_18TensorIteratorBaseEENKUlvE_clEvENKUlvE_clEvENKUldE_clEd@rel32@hi+12
	s_swappc_b64 s[30:31], s[4:5]
	v_mul_lo_u32 v2, v46, s26
	s_and_b32 s5, s28, 0xff
	s_cmp_lt_i32 s5, 11
	v_ashrrev_i32_e32 v3, 31, v2
	v_add_co_u32 v4, vcc_lo, s36, v2
	v_add_co_ci_u32_e64 v5, null, s37, v3, vcc_lo
	s_cbranch_scc1 .LBB7_658
; %bb.651:
	s_and_b32 s6, 0xffff, s5
	s_cmp_gt_i32 s6, 25
	s_cbranch_scc0 .LBB7_659
; %bb.652:
	s_cmp_gt_i32 s6, 28
	s_cbranch_scc0 .LBB7_660
; %bb.653:
	;; [unrolled: 3-line block ×4, first 2 shown]
	s_mov_b32 s8, 0
	s_mov_b32 s4, -1
	s_cmp_eq_u32 s6, 46
	s_mov_b32 s7, 0
	s_cbranch_scc0 .LBB7_663
; %bb.656:
	v_cvt_f32_f64_e32 v2, v[0:1]
	s_mov_b32 s7, -1
	s_mov_b32 s4, 0
	v_bfe_u32 v3, v2, 16, 1
	v_cmp_o_f32_e32 vcc_lo, v2, v2
	v_add3_u32 v2, v2, v3, 0x7fff
	v_mov_b32_e32 v3, 0x7fc0
	v_cndmask_b32_sdwa v2, v3, v2, vcc_lo dst_sel:DWORD dst_unused:UNUSED_PAD src0_sel:DWORD src1_sel:WORD_1
	global_store_dword v[4:5], v2, off
	s_branch .LBB7_663
.LBB7_657:
	s_mov_b32 s6, 0
	s_mov_b32 s4, s44
	s_branch .LBB7_774
.LBB7_658:
	s_mov_b32 s6, -1
	s_mov_b32 s7, 0
	s_mov_b32 s4, s44
	s_branch .LBB7_732
.LBB7_659:
	s_mov_b32 s8, -1
	s_mov_b32 s7, 0
	s_mov_b32 s4, s44
	s_branch .LBB7_690
.LBB7_660:
	s_mov_b32 s8, -1
	s_mov_b32 s7, 0
	s_mov_b32 s4, s44
	s_branch .LBB7_673
.LBB7_661:
	s_mov_b32 s8, -1
	s_mov_b32 s7, 0
	s_mov_b32 s4, s44
	s_branch .LBB7_669
.LBB7_662:
	s_mov_b32 s8, -1
	s_mov_b32 s7, 0
	s_mov_b32 s4, s44
.LBB7_663:
	s_and_b32 vcc_lo, exec_lo, s8
	s_cbranch_vccz .LBB7_668
; %bb.664:
	s_cmp_eq_u32 s6, 44
	s_mov_b32 s4, -1
	s_cbranch_scc0 .LBB7_668
; %bb.665:
	v_cvt_f32_f64_e32 v2, v[0:1]
	v_mov_b32_e32 v3, 0xff
	s_mov_b32 s7, exec_lo
	v_bfe_u32 v6, v2, 23, 8
	v_cmpx_ne_u32_e32 0xff, v6
	s_cbranch_execz .LBB7_667
; %bb.666:
	v_and_b32_e32 v3, 0x400000, v2
	v_and_or_b32 v6, 0x3fffff, v2, v6
	v_lshrrev_b32_e32 v2, 23, v2
	v_cmp_ne_u32_e32 vcc_lo, 0, v3
	v_cmp_ne_u32_e64 s4, 0, v6
	s_and_b32 s4, vcc_lo, s4
	v_cndmask_b32_e64 v3, 0, 1, s4
	v_add_nc_u32_e32 v3, v2, v3
.LBB7_667:
	s_or_b32 exec_lo, exec_lo, s7
	s_mov_b32 s7, -1
	s_mov_b32 s4, 0
	global_store_byte v[4:5], v3, off
.LBB7_668:
	s_mov_b32 s8, 0
.LBB7_669:
	s_and_b32 vcc_lo, exec_lo, s8
	s_cbranch_vccz .LBB7_672
; %bb.670:
	s_cmp_eq_u32 s6, 29
	s_mov_b32 s4, -1
	s_cbranch_scc0 .LBB7_672
; %bb.671:
	v_trunc_f64_e32 v[2:3], v[0:1]
	s_mov_b32 s7, -1
	s_mov_b32 s4, 0
	s_mov_b32 s8, 0
	v_ldexp_f64 v[6:7], v[2:3], 0xffffffe0
	v_floor_f64_e32 v[6:7], v[6:7]
	v_fma_f64 v[2:3], 0xc1f00000, v[6:7], v[2:3]
	v_cvt_u32_f64_e32 v7, v[6:7]
	v_cvt_u32_f64_e32 v6, v[2:3]
	global_store_dwordx2 v[4:5], v[6:7], off
	s_branch .LBB7_673
.LBB7_672:
	s_mov_b32 s8, 0
.LBB7_673:
	s_and_b32 vcc_lo, exec_lo, s8
	s_cbranch_vccz .LBB7_689
; %bb.674:
	s_cmp_lt_i32 s6, 27
	s_mov_b32 s7, -1
	s_cbranch_scc1 .LBB7_680
; %bb.675:
	v_cvt_u32_f64_e32 v2, v[0:1]
	s_cmp_gt_i32 s6, 27
	s_cbranch_scc0 .LBB7_677
; %bb.676:
	s_mov_b32 s7, 0
	global_store_dword v[4:5], v2, off
.LBB7_677:
	s_andn2_b32 vcc_lo, exec_lo, s7
	s_cbranch_vccnz .LBB7_679
; %bb.678:
	global_store_short v[4:5], v2, off
.LBB7_679:
	s_mov_b32 s7, 0
.LBB7_680:
	s_andn2_b32 vcc_lo, exec_lo, s7
	s_cbranch_vccnz .LBB7_688
; %bb.681:
	v_cvt_f32_f64_e32 v2, v[0:1]
	v_mov_b32_e32 v6, 0x80
	s_mov_b32 s7, exec_lo
	v_and_b32_e32 v3, 0x7fffffff, v2
	v_cmpx_gt_u32_e32 0x43800000, v3
	s_cbranch_execz .LBB7_687
; %bb.682:
	v_cmp_lt_u32_e32 vcc_lo, 0x3bffffff, v3
	s_mov_b32 s8, 0
                                        ; implicit-def: $vgpr3
	s_and_saveexec_b32 s9, vcc_lo
	s_xor_b32 s9, exec_lo, s9
	s_cbranch_execz .LBB7_789
; %bb.683:
	v_bfe_u32 v3, v2, 20, 1
	s_mov_b32 s8, exec_lo
	v_add3_u32 v3, v2, v3, 0x487ffff
	v_lshrrev_b32_e32 v3, 20, v3
	s_andn2_saveexec_b32 s9, s9
	s_cbranch_execnz .LBB7_790
.LBB7_684:
	s_or_b32 exec_lo, exec_lo, s9
	v_mov_b32_e32 v6, 0
	s_and_saveexec_b32 s9, s8
.LBB7_685:
	v_lshrrev_b32_e32 v2, 24, v2
	v_and_or_b32 v6, 0x80, v2, v3
.LBB7_686:
	s_or_b32 exec_lo, exec_lo, s9
.LBB7_687:
	s_or_b32 exec_lo, exec_lo, s7
	global_store_byte v[4:5], v6, off
.LBB7_688:
	s_mov_b32 s7, -1
.LBB7_689:
	s_mov_b32 s8, 0
.LBB7_690:
	s_and_b32 vcc_lo, exec_lo, s8
	s_cbranch_vccz .LBB7_731
; %bb.691:
	s_cmp_gt_i32 s6, 22
	s_mov_b32 s8, -1
	s_cbranch_scc0 .LBB7_723
; %bb.692:
	s_cmp_lt_i32 s6, 24
	s_mov_b32 s7, -1
	s_cbranch_scc1 .LBB7_712
; %bb.693:
	s_cmp_gt_i32 s6, 24
	s_cbranch_scc0 .LBB7_701
; %bb.694:
	v_cvt_f32_f64_e32 v2, v[0:1]
	v_mov_b32_e32 v6, 0x80
	s_mov_b32 s7, exec_lo
	v_and_b32_e32 v3, 0x7fffffff, v2
	v_cmpx_gt_u32_e32 0x47800000, v3
	s_cbranch_execz .LBB7_700
; %bb.695:
	v_cmp_lt_u32_e32 vcc_lo, 0x37ffffff, v3
	s_mov_b32 s8, 0
                                        ; implicit-def: $vgpr3
	s_and_saveexec_b32 s9, vcc_lo
	s_xor_b32 s9, exec_lo, s9
	s_cbranch_execz .LBB7_792
; %bb.696:
	v_bfe_u32 v3, v2, 21, 1
	s_mov_b32 s8, exec_lo
	v_add3_u32 v3, v2, v3, 0x88fffff
	v_lshrrev_b32_e32 v3, 21, v3
	s_andn2_saveexec_b32 s9, s9
	s_cbranch_execnz .LBB7_793
.LBB7_697:
	s_or_b32 exec_lo, exec_lo, s9
	v_mov_b32_e32 v6, 0
	s_and_saveexec_b32 s9, s8
.LBB7_698:
	v_lshrrev_b32_e32 v2, 24, v2
	v_and_or_b32 v6, 0x80, v2, v3
.LBB7_699:
	s_or_b32 exec_lo, exec_lo, s9
.LBB7_700:
	s_or_b32 exec_lo, exec_lo, s7
	s_mov_b32 s7, 0
	global_store_byte v[4:5], v6, off
.LBB7_701:
	s_and_b32 vcc_lo, exec_lo, s7
	s_cbranch_vccz .LBB7_711
; %bb.702:
	v_cvt_f32_f64_e32 v2, v[0:1]
	s_mov_b32 s7, exec_lo
                                        ; implicit-def: $vgpr3
	v_and_b32_e32 v6, 0x7fffffff, v2
	v_cmpx_gt_u32_e32 0x43f00000, v6
	s_xor_b32 s7, exec_lo, s7
	s_cbranch_execz .LBB7_708
; %bb.703:
	s_mov_b32 s8, exec_lo
                                        ; implicit-def: $vgpr3
	v_cmpx_lt_u32_e32 0x3c7fffff, v6
	s_xor_b32 s8, exec_lo, s8
; %bb.704:
	v_bfe_u32 v3, v2, 20, 1
	v_add3_u32 v3, v2, v3, 0x407ffff
	v_and_b32_e32 v6, 0xff00000, v3
	v_lshrrev_b32_e32 v3, 20, v3
	v_cmp_ne_u32_e32 vcc_lo, 0x7f00000, v6
	v_cndmask_b32_e32 v3, 0x7e, v3, vcc_lo
; %bb.705:
	s_andn2_saveexec_b32 s8, s8
; %bb.706:
	v_add_f32_e64 v3, 0x46800000, |v2|
; %bb.707:
	s_or_b32 exec_lo, exec_lo, s8
                                        ; implicit-def: $vgpr6
.LBB7_708:
	s_andn2_saveexec_b32 s7, s7
; %bb.709:
	v_mov_b32_e32 v3, 0x7f
	v_cmp_lt_u32_e32 vcc_lo, 0x7f800000, v6
	v_cndmask_b32_e32 v3, 0x7e, v3, vcc_lo
; %bb.710:
	s_or_b32 exec_lo, exec_lo, s7
	v_lshrrev_b32_e32 v2, 24, v2
	v_and_or_b32 v2, 0x80, v2, v3
	global_store_byte v[4:5], v2, off
.LBB7_711:
	s_mov_b32 s7, 0
.LBB7_712:
	s_andn2_b32 vcc_lo, exec_lo, s7
	s_cbranch_vccnz .LBB7_722
; %bb.713:
	v_cvt_f32_f64_e32 v2, v[0:1]
	s_mov_b32 s7, exec_lo
                                        ; implicit-def: $vgpr3
	v_and_b32_e32 v6, 0x7fffffff, v2
	v_cmpx_gt_u32_e32 0x47800000, v6
	s_xor_b32 s7, exec_lo, s7
	s_cbranch_execz .LBB7_719
; %bb.714:
	s_mov_b32 s8, exec_lo
                                        ; implicit-def: $vgpr3
	v_cmpx_lt_u32_e32 0x387fffff, v6
	s_xor_b32 s8, exec_lo, s8
; %bb.715:
	v_bfe_u32 v3, v2, 21, 1
	v_add3_u32 v3, v2, v3, 0x80fffff
	v_lshrrev_b32_e32 v3, 21, v3
; %bb.716:
	s_andn2_saveexec_b32 s8, s8
; %bb.717:
	v_add_f32_e64 v3, 0x43000000, |v2|
; %bb.718:
	s_or_b32 exec_lo, exec_lo, s8
                                        ; implicit-def: $vgpr6
.LBB7_719:
	s_andn2_saveexec_b32 s7, s7
; %bb.720:
	v_mov_b32_e32 v3, 0x7f
	v_cmp_lt_u32_e32 vcc_lo, 0x7f800000, v6
	v_cndmask_b32_e32 v3, 0x7c, v3, vcc_lo
; %bb.721:
	s_or_b32 exec_lo, exec_lo, s7
	v_lshrrev_b32_e32 v2, 24, v2
	v_and_or_b32 v2, 0x80, v2, v3
	global_store_byte v[4:5], v2, off
.LBB7_722:
	s_mov_b32 s8, 0
	s_mov_b32 s7, -1
.LBB7_723:
	s_andn2_b32 vcc_lo, exec_lo, s8
	s_cbranch_vccnz .LBB7_731
; %bb.724:
	s_cmp_gt_i32 s6, 14
	s_mov_b32 s8, -1
	s_cbranch_scc0 .LBB7_728
; %bb.725:
	s_cmp_eq_u32 s6, 15
	s_mov_b32 s4, -1
	s_cbranch_scc0 .LBB7_727
; %bb.726:
	v_cvt_f32_f64_e32 v2, v[0:1]
	s_mov_b32 s7, -1
	s_mov_b32 s4, 0
	v_bfe_u32 v3, v2, 16, 1
	v_cmp_o_f32_e32 vcc_lo, v2, v2
	v_add3_u32 v2, v2, v3, 0x7fff
	v_mov_b32_e32 v3, 0x7fc0
	v_cndmask_b32_sdwa v2, v3, v2, vcc_lo dst_sel:DWORD dst_unused:UNUSED_PAD src0_sel:DWORD src1_sel:WORD_1
	global_store_short v[4:5], v2, off
.LBB7_727:
	s_mov_b32 s8, 0
.LBB7_728:
	s_and_b32 vcc_lo, exec_lo, s8
	s_cbranch_vccz .LBB7_731
; %bb.729:
	s_cmp_eq_u32 s6, 11
	s_mov_b32 s4, -1
	s_cbranch_scc0 .LBB7_731
; %bb.730:
	v_cmp_neq_f64_e32 vcc_lo, 0, v[0:1]
	s_mov_b32 s7, -1
	s_mov_b32 s4, 0
	v_cndmask_b32_e64 v2, 0, 1, vcc_lo
	global_store_byte v[4:5], v2, off
.LBB7_731:
	s_mov_b32 s6, 0
.LBB7_732:
	s_and_b32 vcc_lo, exec_lo, s6
	s_cbranch_vccz .LBB7_771
; %bb.733:
	s_and_b32 s5, 0xffff, s5
	s_mov_b32 s6, -1
	s_cmp_lt_i32 s5, 5
	s_cbranch_scc1 .LBB7_754
; %bb.734:
	s_cmp_lt_i32 s5, 8
	s_cbranch_scc1 .LBB7_744
; %bb.735:
	;; [unrolled: 3-line block ×3, first 2 shown]
	s_cmp_gt_i32 s5, 9
	s_cbranch_scc0 .LBB7_738
; %bb.737:
	v_mov_b32_e32 v2, 0
	s_mov_b32 s6, 0
	v_mov_b32_e32 v3, v2
	global_store_dwordx4 v[4:5], v[0:3], off
.LBB7_738:
	s_andn2_b32 vcc_lo, exec_lo, s6
	s_cbranch_vccnz .LBB7_740
; %bb.739:
	v_cvt_f32_f64_e32 v2, v[0:1]
	v_mov_b32_e32 v3, 0
	global_store_dwordx2 v[4:5], v[2:3], off
.LBB7_740:
	s_mov_b32 s6, 0
.LBB7_741:
	s_andn2_b32 vcc_lo, exec_lo, s6
	s_cbranch_vccnz .LBB7_743
; %bb.742:
	v_and_or_b32 v2, 0x1ff, v1, v0
	v_lshrrev_b32_e32 v3, 8, v1
	v_bfe_u32 v6, v1, 20, 11
	v_cmp_ne_u32_e32 vcc_lo, 0, v2
	v_sub_nc_u32_e32 v7, 0x3f1, v6
	v_add_nc_u32_e32 v6, 0xfffffc10, v6
	v_cndmask_b32_e64 v2, 0, 1, vcc_lo
	v_and_or_b32 v2, 0xffe, v3, v2
	v_med3_i32 v3, v7, 0, 13
	v_or_b32_e32 v7, 0x1000, v2
	v_lshrrev_b32_e32 v8, v3, v7
	v_lshlrev_b32_e32 v3, v3, v8
	v_cmp_ne_u32_e32 vcc_lo, v3, v7
	v_lshl_or_b32 v7, v6, 12, v2
	v_cndmask_b32_e64 v3, 0, 1, vcc_lo
	v_cmp_gt_i32_e32 vcc_lo, 1, v6
	v_or_b32_e32 v3, v8, v3
	v_cndmask_b32_e32 v3, v7, v3, vcc_lo
	v_and_b32_e32 v7, 7, v3
	v_lshrrev_b32_e32 v3, 2, v3
	v_cmp_lt_i32_e32 vcc_lo, 5, v7
	v_cndmask_b32_e64 v8, 0, 1, vcc_lo
	v_cmp_eq_u32_e32 vcc_lo, 3, v7
	v_cndmask_b32_e64 v7, 0, 1, vcc_lo
	v_cmp_ne_u32_e32 vcc_lo, 0, v2
	v_or_b32_e32 v7, v7, v8
	v_mov_b32_e32 v8, 0x7e00
	v_add_nc_u32_e32 v3, v3, v7
	v_cndmask_b32_e32 v2, 0x7c00, v8, vcc_lo
	v_cmp_gt_i32_e32 vcc_lo, 31, v6
	v_cndmask_b32_e32 v3, 0x7c00, v3, vcc_lo
	v_cmp_eq_u32_e32 vcc_lo, 0x40f, v6
	v_cndmask_b32_e32 v2, v3, v2, vcc_lo
	v_lshrrev_b32_e32 v3, 16, v1
	v_and_or_b32 v2, 0x8000, v3, v2
	v_and_b32_e32 v2, 0xffff, v2
	global_store_dword v[4:5], v2, off
.LBB7_743:
	s_mov_b32 s6, 0
.LBB7_744:
	s_andn2_b32 vcc_lo, exec_lo, s6
	s_cbranch_vccnz .LBB7_753
; %bb.745:
	s_cmp_lt_i32 s5, 6
	s_mov_b32 s6, -1
	s_cbranch_scc1 .LBB7_751
; %bb.746:
	s_cmp_gt_i32 s5, 6
	s_cbranch_scc0 .LBB7_748
; %bb.747:
	s_mov_b32 s6, 0
	global_store_dwordx2 v[4:5], v[0:1], off
.LBB7_748:
	s_andn2_b32 vcc_lo, exec_lo, s6
	s_cbranch_vccnz .LBB7_750
; %bb.749:
	v_cvt_f32_f64_e32 v2, v[0:1]
	global_store_dword v[4:5], v2, off
.LBB7_750:
	s_mov_b32 s6, 0
.LBB7_751:
	s_andn2_b32 vcc_lo, exec_lo, s6
	s_cbranch_vccnz .LBB7_753
; %bb.752:
	v_and_or_b32 v2, 0x1ff, v1, v0
	v_lshrrev_b32_e32 v3, 8, v1
	v_bfe_u32 v6, v1, 20, 11
	v_cmp_ne_u32_e32 vcc_lo, 0, v2
	v_sub_nc_u32_e32 v7, 0x3f1, v6
	v_add_nc_u32_e32 v6, 0xfffffc10, v6
	v_cndmask_b32_e64 v2, 0, 1, vcc_lo
	v_and_or_b32 v2, 0xffe, v3, v2
	v_med3_i32 v3, v7, 0, 13
	v_or_b32_e32 v7, 0x1000, v2
	v_lshrrev_b32_e32 v8, v3, v7
	v_lshlrev_b32_e32 v3, v3, v8
	v_cmp_ne_u32_e32 vcc_lo, v3, v7
	v_lshl_or_b32 v7, v6, 12, v2
	v_cndmask_b32_e64 v3, 0, 1, vcc_lo
	v_cmp_gt_i32_e32 vcc_lo, 1, v6
	v_or_b32_e32 v3, v8, v3
	v_cndmask_b32_e32 v3, v7, v3, vcc_lo
	v_and_b32_e32 v7, 7, v3
	v_lshrrev_b32_e32 v3, 2, v3
	v_cmp_lt_i32_e32 vcc_lo, 5, v7
	v_cndmask_b32_e64 v8, 0, 1, vcc_lo
	v_cmp_eq_u32_e32 vcc_lo, 3, v7
	v_cndmask_b32_e64 v7, 0, 1, vcc_lo
	v_cmp_ne_u32_e32 vcc_lo, 0, v2
	v_or_b32_e32 v7, v7, v8
	v_mov_b32_e32 v8, 0x7e00
	v_add_nc_u32_e32 v3, v3, v7
	v_cndmask_b32_e32 v2, 0x7c00, v8, vcc_lo
	v_cmp_gt_i32_e32 vcc_lo, 31, v6
	v_cndmask_b32_e32 v3, 0x7c00, v3, vcc_lo
	v_cmp_eq_u32_e32 vcc_lo, 0x40f, v6
	v_cndmask_b32_e32 v2, v3, v2, vcc_lo
	v_lshrrev_b32_e32 v3, 16, v1
	v_and_or_b32 v2, 0x8000, v3, v2
	global_store_short v[4:5], v2, off
.LBB7_753:
	s_mov_b32 s6, 0
.LBB7_754:
	s_andn2_b32 vcc_lo, exec_lo, s6
	s_cbranch_vccnz .LBB7_770
; %bb.755:
	s_cmp_lt_i32 s5, 2
	s_mov_b32 s6, -1
	s_cbranch_scc1 .LBB7_765
; %bb.756:
	s_cmp_lt_i32 s5, 3
	s_cbranch_scc1 .LBB7_762
; %bb.757:
	s_cmp_gt_i32 s5, 3
	s_cbranch_scc0 .LBB7_759
; %bb.758:
	v_trunc_f64_e32 v[2:3], v[0:1]
	s_mov_b32 s6, 0
	v_ldexp_f64 v[6:7], v[2:3], 0xffffffe0
	v_floor_f64_e32 v[6:7], v[6:7]
	v_fma_f64 v[2:3], 0xc1f00000, v[6:7], v[2:3]
	v_cvt_i32_f64_e32 v7, v[6:7]
	v_cvt_u32_f64_e32 v6, v[2:3]
	global_store_dwordx2 v[4:5], v[6:7], off
.LBB7_759:
	s_andn2_b32 vcc_lo, exec_lo, s6
	s_cbranch_vccnz .LBB7_761
; %bb.760:
	v_cvt_i32_f64_e32 v2, v[0:1]
	global_store_dword v[4:5], v2, off
.LBB7_761:
	s_mov_b32 s6, 0
.LBB7_762:
	s_andn2_b32 vcc_lo, exec_lo, s6
	s_cbranch_vccnz .LBB7_764
; %bb.763:
	v_cvt_i32_f64_e32 v2, v[0:1]
	global_store_short v[4:5], v2, off
.LBB7_764:
	s_mov_b32 s6, 0
.LBB7_765:
	s_andn2_b32 vcc_lo, exec_lo, s6
	s_cbranch_vccnz .LBB7_770
; %bb.766:
	s_cmp_gt_i32 s5, 0
	s_mov_b32 s5, -1
	s_cbranch_scc0 .LBB7_768
; %bb.767:
	v_cvt_i32_f64_e32 v2, v[0:1]
	s_mov_b32 s5, 0
	global_store_byte v[4:5], v2, off
.LBB7_768:
	s_andn2_b32 vcc_lo, exec_lo, s5
	s_cbranch_vccnz .LBB7_770
; %bb.769:
	v_trunc_f64_e32 v[0:1], v[0:1]
	v_ldexp_f64 v[2:3], v[0:1], 0xffffffe0
	v_floor_f64_e32 v[2:3], v[2:3]
	v_fma_f64 v[0:1], 0xc1f00000, v[2:3], v[0:1]
	v_cvt_u32_f64_e32 v0, v[0:1]
	global_store_byte v[4:5], v0, off
.LBB7_770:
	s_mov_b32 s7, -1
.LBB7_771:
	s_andn2_b32 vcc_lo, exec_lo, s7
	s_cbranch_vccnz .LBB7_773
; %bb.772:
	v_add_nc_u32_e32 v46, 0x80, v46
	s_mov_b32 s6, -1
	s_branch .LBB7_775
.LBB7_773:
	s_mov_b32 s6, 0
.LBB7_774:
                                        ; implicit-def: $vgpr46
.LBB7_775:
	s_andn2_b32 s5, s44, exec_lo
	s_and_b32 s4, s4, exec_lo
	s_andn2_b32 s7, s43, exec_lo
	s_and_b32 s8, s47, exec_lo
	s_or_b32 s5, s5, s4
	s_or_b32 s4, s7, s8
	s_orn2_b32 s10, s6, exec_lo
.LBB7_776:
	s_or_b32 exec_lo, exec_lo, s46
	s_mov_b32 s8, 0
	s_mov_b32 s9, 0
	;; [unrolled: 1-line block ×3, first 2 shown]
                                        ; implicit-def: $vgpr0_vgpr1
                                        ; implicit-def: $vgpr2_vgpr3
	s_and_saveexec_b32 s6, s10
	s_cbranch_execz .LBB7_861
; %bb.777:
	s_mov_b32 s10, s4
	s_mov_b32 s11, 0
	;; [unrolled: 1-line block ×3, first 2 shown]
	s_mov_b32 s7, exec_lo
                                        ; implicit-def: $vgpr0_vgpr1
                                        ; implicit-def: $vgpr2_vgpr3
	v_cmpx_gt_i32_e64 s40, v46
	s_cbranch_execz .LBB7_860
; %bb.778:
	s_waitcnt vmcnt(0)
	v_mul_lo_u32 v0, v46, s27
	s_and_b32 s8, 0xffff, s33
	s_cmp_lt_i32 s8, 11
	v_ashrrev_i32_e32 v1, 31, v0
	v_add_co_u32 v0, vcc_lo, s38, v0
	v_add_co_ci_u32_e64 v1, null, s39, v1, vcc_lo
	s_cbranch_scc1 .LBB7_785
; %bb.779:
	s_cmp_gt_i32 s8, 25
	s_mov_b32 s10, 0
	s_cbranch_scc0 .LBB7_786
; %bb.780:
	s_cmp_gt_i32 s8, 28
	s_cbranch_scc0 .LBB7_787
; %bb.781:
	s_cmp_gt_i32 s8, 43
	;; [unrolled: 3-line block ×3, first 2 shown]
	s_cbranch_scc0 .LBB7_791
; %bb.783:
	s_cmp_eq_u32 s8, 46
	s_cbranch_scc0 .LBB7_794
; %bb.784:
	global_load_dword v2, v[0:1], off
	s_mov_b32 s11, -1
	s_waitcnt vmcnt(0)
	v_lshlrev_b32_e32 v2, 16, v2
	v_cvt_f64_f32_e32 v[2:3], v2
	s_branch .LBB7_796
.LBB7_785:
	s_mov_b32 s8, -1
	s_mov_b32 s10, 0
	s_mov_b32 s9, s4
                                        ; implicit-def: $vgpr2_vgpr3
	s_branch .LBB7_859
.LBB7_786:
	s_mov_b32 s12, -1
	s_mov_b32 s9, s4
                                        ; implicit-def: $vgpr2_vgpr3
	s_branch .LBB7_827
.LBB7_787:
	s_mov_b32 s12, -1
	s_mov_b32 s9, s4
                                        ; implicit-def: $vgpr2_vgpr3
	s_branch .LBB7_806
.LBB7_788:
	s_mov_b32 s12, -1
	s_mov_b32 s9, s4
                                        ; implicit-def: $vgpr2_vgpr3
	s_branch .LBB7_801
.LBB7_789:
	s_andn2_saveexec_b32 s9, s9
	s_cbranch_execz .LBB7_684
.LBB7_790:
	v_add_f32_e64 v3, 0x46000000, |v2|
	s_andn2_b32 s8, s8, exec_lo
	v_and_b32_e32 v3, 0xff, v3
	v_cmp_ne_u32_e32 vcc_lo, 0, v3
	s_and_b32 s10, vcc_lo, exec_lo
	s_or_b32 s8, s8, s10
	s_or_b32 exec_lo, exec_lo, s9
	v_mov_b32_e32 v6, 0
	s_and_saveexec_b32 s9, s8
	s_cbranch_execnz .LBB7_685
	s_branch .LBB7_686
.LBB7_791:
	s_mov_b32 s12, -1
	s_mov_b32 s9, s4
	s_branch .LBB7_795
.LBB7_792:
	s_andn2_saveexec_b32 s9, s9
	s_cbranch_execz .LBB7_697
.LBB7_793:
	v_add_f32_e64 v3, 0x42800000, |v2|
	s_andn2_b32 s8, s8, exec_lo
	v_and_b32_e32 v3, 0xff, v3
	v_cmp_ne_u32_e32 vcc_lo, 0, v3
	s_and_b32 s10, vcc_lo, exec_lo
	s_or_b32 s8, s8, s10
	s_or_b32 exec_lo, exec_lo, s9
	v_mov_b32_e32 v6, 0
	s_and_saveexec_b32 s9, s8
	s_cbranch_execnz .LBB7_698
	s_branch .LBB7_699
.LBB7_794:
	s_mov_b32 s9, -1
.LBB7_795:
                                        ; implicit-def: $vgpr2_vgpr3
.LBB7_796:
	s_and_b32 vcc_lo, exec_lo, s12
	s_cbranch_vccz .LBB7_800
; %bb.797:
	s_cmp_eq_u32 s8, 44
	s_cbranch_scc0 .LBB7_799
; %bb.798:
	global_load_ubyte v4, v[0:1], off
	s_mov_b32 s9, 0
	s_mov_b32 s11, -1
	s_waitcnt vmcnt(0)
	v_lshlrev_b32_e32 v2, 23, v4
	v_cmp_ne_u32_e32 vcc_lo, 0xff, v4
	v_cvt_f64_f32_e32 v[2:3], v2
	v_cndmask_b32_e32 v2, 0x20000000, v2, vcc_lo
	v_cndmask_b32_e32 v3, 0x7ff80000, v3, vcc_lo
	v_cmp_ne_u32_e32 vcc_lo, 0, v4
	v_cndmask_b32_e32 v3, 0x38000000, v3, vcc_lo
	v_cndmask_b32_e32 v2, 0, v2, vcc_lo
	s_branch .LBB7_800
.LBB7_799:
	s_mov_b32 s9, -1
                                        ; implicit-def: $vgpr2_vgpr3
.LBB7_800:
	s_mov_b32 s12, 0
.LBB7_801:
	s_and_b32 vcc_lo, exec_lo, s12
	s_cbranch_vccz .LBB7_805
; %bb.802:
	s_cmp_eq_u32 s8, 29
	s_cbranch_scc0 .LBB7_804
; %bb.803:
	global_load_dwordx2 v[2:3], v[0:1], off
	s_mov_b32 s9, 0
	s_mov_b32 s11, -1
	s_mov_b32 s12, 0
	s_waitcnt vmcnt(0)
	v_cvt_f64_u32_e32 v[3:4], v3
	v_cvt_f64_u32_e32 v[5:6], v2
	v_ldexp_f64 v[3:4], v[3:4], 32
	v_add_f64 v[2:3], v[3:4], v[5:6]
	s_branch .LBB7_806
.LBB7_804:
	s_mov_b32 s9, -1
                                        ; implicit-def: $vgpr2_vgpr3
.LBB7_805:
	s_mov_b32 s12, 0
.LBB7_806:
	s_and_b32 vcc_lo, exec_lo, s12
	s_cbranch_vccz .LBB7_826
; %bb.807:
	s_cmp_lt_i32 s8, 27
	s_cbranch_scc1 .LBB7_810
; %bb.808:
	s_cmp_gt_i32 s8, 27
	s_cbranch_scc0 .LBB7_811
; %bb.809:
	global_load_dword v2, v[0:1], off
	s_mov_b32 s11, 0
	s_waitcnt vmcnt(0)
	v_cvt_f64_u32_e32 v[2:3], v2
	s_branch .LBB7_812
.LBB7_810:
	s_mov_b32 s11, -1
                                        ; implicit-def: $vgpr2_vgpr3
	s_branch .LBB7_815
.LBB7_811:
	s_mov_b32 s11, -1
                                        ; implicit-def: $vgpr2_vgpr3
.LBB7_812:
	s_andn2_b32 vcc_lo, exec_lo, s11
	s_cbranch_vccnz .LBB7_814
; %bb.813:
	global_load_ushort v2, v[0:1], off
	s_waitcnt vmcnt(0)
	v_cvt_f64_u32_e32 v[2:3], v2
.LBB7_814:
	s_mov_b32 s11, 0
.LBB7_815:
	s_andn2_b32 vcc_lo, exec_lo, s11
	s_cbranch_vccnz .LBB7_825
; %bb.816:
	global_load_ubyte v4, v[0:1], off
	s_mov_b32 s11, 0
	s_mov_b32 s12, exec_lo
	s_waitcnt vmcnt(0)
	v_cmpx_lt_i16_e32 0x7f, v4
	s_xor_b32 s12, exec_lo, s12
	s_cbranch_execz .LBB7_820
; %bb.817:
	s_mov_b32 s11, -1
	s_mov_b32 s13, exec_lo
	v_cmpx_eq_u16_e32 0x80, v4
; %bb.818:
	s_xor_b32 s11, exec_lo, -1
; %bb.819:
	s_or_b32 exec_lo, exec_lo, s13
	s_and_b32 s11, s11, exec_lo
.LBB7_820:
	s_or_saveexec_b32 s12, s12
	v_bfrev_b32_e32 v2, 4
	v_mov_b32_e32 v3, 0x7ff80000
	s_xor_b32 exec_lo, exec_lo, s12
; %bb.821:
	v_cmp_ne_u16_e32 vcc_lo, 0, v4
	v_mov_b32_e32 v2, 0
	v_mov_b32_e32 v3, 0
	s_andn2_b32 s11, s11, exec_lo
	s_and_b32 s13, vcc_lo, exec_lo
	s_or_b32 s11, s11, s13
; %bb.822:
	s_or_b32 exec_lo, exec_lo, s12
	s_and_saveexec_b32 s12, s11
	s_cbranch_execz .LBB7_824
; %bb.823:
	v_and_b32_e32 v2, 0xffff, v4
	v_lshlrev_b32_e32 v4, 24, v4
	v_and_b32_e32 v3, 7, v2
	v_bfe_u32 v7, v2, 3, 4
	v_ffbh_u32_e32 v5, v3
	v_cmp_eq_u32_e32 vcc_lo, 0, v7
	v_min_u32_e32 v5, 32, v5
	v_subrev_nc_u32_e32 v6, 28, v5
	v_sub_nc_u32_e32 v5, 29, v5
	v_lshlrev_b32_e32 v2, v6, v2
	v_cndmask_b32_e32 v5, v7, v5, vcc_lo
	v_and_b32_e32 v2, 7, v2
	v_cndmask_b32_e32 v2, v3, v2, vcc_lo
	v_and_b32_e32 v3, 0x80000000, v4
	v_lshl_add_u32 v4, v5, 23, 0x3b800000
	v_lshlrev_b32_e32 v2, 20, v2
	v_or3_b32 v2, v3, v4, v2
	v_cvt_f64_f32_e32 v[2:3], v2
.LBB7_824:
	s_or_b32 exec_lo, exec_lo, s12
.LBB7_825:
	s_mov_b32 s11, -1
.LBB7_826:
	s_mov_b32 s12, 0
.LBB7_827:
	s_and_b32 vcc_lo, exec_lo, s12
	s_cbranch_vccz .LBB7_858
; %bb.828:
	s_cmp_gt_i32 s8, 22
	s_cbranch_scc0 .LBB7_840
; %bb.829:
	s_cmp_lt_i32 s8, 24
	s_cbranch_scc1 .LBB7_841
; %bb.830:
	s_cmp_gt_i32 s8, 24
	s_cbranch_scc0 .LBB7_842
; %bb.831:
	global_load_ubyte v4, v[0:1], off
	s_mov_b32 s11, exec_lo
	s_waitcnt vmcnt(0)
	v_cmpx_lt_i16_e32 0x7f, v4
	s_xor_b32 s11, exec_lo, s11
	s_cbranch_execz .LBB7_835
; %bb.832:
	s_mov_b32 s10, -1
	s_mov_b32 s12, exec_lo
	v_cmpx_eq_u16_e32 0x80, v4
; %bb.833:
	s_xor_b32 s10, exec_lo, -1
; %bb.834:
	s_or_b32 exec_lo, exec_lo, s12
	s_and_b32 s10, s10, exec_lo
.LBB7_835:
	s_or_saveexec_b32 s11, s11
	v_bfrev_b32_e32 v2, 4
	v_mov_b32_e32 v3, 0x7ff80000
	s_xor_b32 exec_lo, exec_lo, s11
; %bb.836:
	v_cmp_ne_u16_e32 vcc_lo, 0, v4
	v_mov_b32_e32 v2, 0
	v_mov_b32_e32 v3, 0
	s_andn2_b32 s10, s10, exec_lo
	s_and_b32 s12, vcc_lo, exec_lo
	s_or_b32 s10, s10, s12
; %bb.837:
	s_or_b32 exec_lo, exec_lo, s11
	s_and_saveexec_b32 s11, s10
	s_cbranch_execz .LBB7_839
; %bb.838:
	v_and_b32_e32 v2, 0xffff, v4
	v_lshlrev_b32_e32 v4, 24, v4
	v_and_b32_e32 v3, 3, v2
	v_bfe_u32 v7, v2, 2, 5
	v_ffbh_u32_e32 v5, v3
	v_cmp_eq_u32_e32 vcc_lo, 0, v7
	v_min_u32_e32 v5, 32, v5
	v_subrev_nc_u32_e32 v6, 29, v5
	v_sub_nc_u32_e32 v5, 30, v5
	v_lshlrev_b32_e32 v2, v6, v2
	v_cndmask_b32_e32 v5, v7, v5, vcc_lo
	v_and_b32_e32 v2, 3, v2
	v_cndmask_b32_e32 v2, v3, v2, vcc_lo
	v_and_b32_e32 v3, 0x80000000, v4
	v_lshl_add_u32 v4, v5, 23, 0x37800000
	v_lshlrev_b32_e32 v2, 21, v2
	v_or3_b32 v2, v3, v4, v2
	v_cvt_f64_f32_e32 v[2:3], v2
.LBB7_839:
	s_or_b32 exec_lo, exec_lo, s11
	s_mov_b32 s10, 0
	s_branch .LBB7_843
.LBB7_840:
	s_mov_b32 s10, -1
                                        ; implicit-def: $vgpr2_vgpr3
	s_branch .LBB7_849
.LBB7_841:
	s_mov_b32 s10, -1
                                        ; implicit-def: $vgpr2_vgpr3
	s_branch .LBB7_846
.LBB7_842:
	s_mov_b32 s10, -1
                                        ; implicit-def: $vgpr2_vgpr3
.LBB7_843:
	s_and_b32 vcc_lo, exec_lo, s10
	s_cbranch_vccz .LBB7_845
; %bb.844:
	global_load_ubyte v2, v[0:1], off
	s_waitcnt vmcnt(0)
	v_lshlrev_b32_e32 v2, 24, v2
	v_and_b32_e32 v3, 0x7f000000, v2
	v_ffbh_u32_e32 v4, v3
	v_add_nc_u32_e32 v6, 0x1000000, v3
	v_cmp_ne_u32_e32 vcc_lo, 0, v3
	v_min_u32_e32 v4, 32, v4
	v_sub_nc_u32_e64 v4, v4, 4 clamp
	v_lshlrev_b32_e32 v5, v4, v3
	v_lshlrev_b32_e32 v4, 23, v4
	v_lshrrev_b32_e32 v5, 4, v5
	v_sub_nc_u32_e32 v4, v5, v4
	v_ashrrev_i32_e32 v5, 8, v6
	v_add_nc_u32_e32 v4, 0x3c000000, v4
	v_and_or_b32 v4, 0x7f800000, v5, v4
	v_cndmask_b32_e32 v3, 0, v4, vcc_lo
	v_and_or_b32 v2, 0x80000000, v2, v3
	v_cvt_f64_f32_e32 v[2:3], v2
.LBB7_845:
	s_mov_b32 s10, 0
.LBB7_846:
	s_andn2_b32 vcc_lo, exec_lo, s10
	s_cbranch_vccnz .LBB7_848
; %bb.847:
	global_load_ubyte v2, v[0:1], off
	s_waitcnt vmcnt(0)
	v_lshlrev_b32_e32 v3, 25, v2
	v_lshlrev_b16 v2, 8, v2
	v_lshrrev_b32_e32 v4, 4, v3
	v_and_or_b32 v5, 0x7f00, v2, 0.5
	v_cmp_gt_u32_e32 vcc_lo, 0x8000000, v3
	v_bfe_i32 v2, v2, 0, 16
	v_or_b32_e32 v4, 0x70000000, v4
	v_add_f32_e32 v5, -0.5, v5
	v_mul_f32_e32 v4, 0x7800000, v4
	v_cndmask_b32_e32 v3, v4, v5, vcc_lo
	v_and_or_b32 v2, 0x80000000, v2, v3
	v_cvt_f64_f32_e32 v[2:3], v2
.LBB7_848:
	s_mov_b32 s10, 0
	s_mov_b32 s11, -1
.LBB7_849:
	s_andn2_b32 vcc_lo, exec_lo, s10
	s_mov_b32 s10, 0
	s_cbranch_vccnz .LBB7_858
; %bb.850:
	s_cmp_gt_i32 s8, 14
	s_cbranch_scc0 .LBB7_853
; %bb.851:
	s_cmp_eq_u32 s8, 15
	s_cbranch_scc0 .LBB7_854
; %bb.852:
	global_load_ushort v2, v[0:1], off
	s_mov_b32 s9, 0
	s_mov_b32 s11, -1
	s_waitcnt vmcnt(0)
	v_lshlrev_b32_e32 v2, 16, v2
	v_cvt_f64_f32_e32 v[2:3], v2
	s_branch .LBB7_856
.LBB7_853:
	s_mov_b32 s10, -1
	s_branch .LBB7_855
.LBB7_854:
	s_mov_b32 s9, -1
.LBB7_855:
                                        ; implicit-def: $vgpr2_vgpr3
.LBB7_856:
	s_and_b32 vcc_lo, exec_lo, s10
	s_mov_b32 s10, 0
	s_cbranch_vccz .LBB7_858
; %bb.857:
	s_cmp_lg_u32 s8, 11
	s_mov_b32 s10, -1
	s_cselect_b32 s8, -1, 0
	s_andn2_b32 s9, s9, exec_lo
	s_and_b32 s8, s8, exec_lo
	s_or_b32 s9, s9, s8
.LBB7_858:
	s_mov_b32 s8, 0
.LBB7_859:
	s_andn2_b32 s13, s4, exec_lo
	s_and_b32 s9, s9, exec_lo
	s_and_b32 s12, s11, exec_lo
	;; [unrolled: 1-line block ×4, first 2 shown]
	s_or_b32 s10, s13, s9
.LBB7_860:
	s_or_b32 exec_lo, exec_lo, s7
	s_andn2_b32 s4, s4, exec_lo
	s_and_b32 s10, s10, exec_lo
	s_and_b32 s7, s12, exec_lo
	s_and_b32 s9, s11, exec_lo
	s_and_b32 s8, s8, exec_lo
	s_or_b32 s4, s4, s10
.LBB7_861:
	s_or_b32 exec_lo, exec_lo, s6
	s_andn2_b32 s6, s44, exec_lo
	s_and_b32 s5, s5, exec_lo
	s_and_b32 s4, s4, exec_lo
	s_or_b32 s44, s6, s5
	s_and_b32 s6, s9, exec_lo
	s_andn2_b32 s9, s43, exec_lo
	s_and_b32 s7, s7, exec_lo
	s_and_b32 s5, s8, exec_lo
	s_or_b32 s43, s9, s4
.LBB7_862:
	s_or_b32 exec_lo, exec_lo, s45
	s_andn2_b32 s4, s35, exec_lo
	s_and_b32 s8, s44, exec_lo
	s_and_b32 s6, s6, exec_lo
	s_or_b32 s35, s4, s8
	s_and_b32 s4, s7, exec_lo
	s_andn2_b32 s7, s41, exec_lo
	s_and_b32 s8, s43, exec_lo
	s_and_b32 s43, s5, exec_lo
	s_or_b32 s41, s7, s8
	s_or_b32 exec_lo, exec_lo, s42
	s_mov_b32 s40, 0
	s_and_saveexec_b32 s5, s41
	s_cbranch_execz .LBB7_262
.LBB7_863:
	s_mov_b32 s40, exec_lo
	s_andn2_b32 s43, s43, exec_lo
	s_trap 2
	s_or_b32 exec_lo, exec_lo, s5
	s_and_saveexec_b32 s5, s43
	s_xor_b32 s5, exec_lo, s5
	s_cbranch_execnz .LBB7_263
.LBB7_864:
	s_or_b32 exec_lo, exec_lo, s5
	s_and_saveexec_b32 s5, s6
	s_cbranch_execz .LBB7_910
.LBB7_865:
	s_sext_i32_i16 s6, s33
	s_cmp_lt_i32 s6, 5
	s_cbranch_scc1 .LBB7_870
; %bb.866:
	s_cmp_lt_i32 s6, 8
	s_cbranch_scc1 .LBB7_871
; %bb.867:
	;; [unrolled: 3-line block ×3, first 2 shown]
	s_cmp_gt_i32 s6, 9
	s_cbranch_scc0 .LBB7_873
; %bb.869:
	s_waitcnt vmcnt(0)
	global_load_dwordx2 v[2:3], v[0:1], off
	s_mov_b32 s6, 0
	s_branch .LBB7_874
.LBB7_870:
                                        ; implicit-def: $vgpr2_vgpr3
	s_branch .LBB7_891
.LBB7_871:
                                        ; implicit-def: $vgpr2_vgpr3
	s_branch .LBB7_880
.LBB7_872:
	s_mov_b32 s6, -1
                                        ; implicit-def: $vgpr2_vgpr3
	s_branch .LBB7_877
.LBB7_873:
	s_mov_b32 s6, -1
                                        ; implicit-def: $vgpr2_vgpr3
.LBB7_874:
	s_andn2_b32 vcc_lo, exec_lo, s6
	s_cbranch_vccnz .LBB7_876
; %bb.875:
	s_waitcnt vmcnt(0)
	global_load_dword v2, v[0:1], off
	s_waitcnt vmcnt(0)
	v_cvt_f64_f32_e32 v[2:3], v2
.LBB7_876:
	s_mov_b32 s6, 0
.LBB7_877:
	s_andn2_b32 vcc_lo, exec_lo, s6
	s_cbranch_vccnz .LBB7_879
; %bb.878:
	s_waitcnt vmcnt(0)
	global_load_dword v2, v[0:1], off
	s_waitcnt vmcnt(0)
	v_cvt_f32_f16_e32 v2, v2
	v_cvt_f64_f32_e32 v[2:3], v2
.LBB7_879:
	s_cbranch_execnz .LBB7_890
.LBB7_880:
	s_sext_i32_i16 s6, s33
	s_cmp_lt_i32 s6, 6
	s_cbranch_scc1 .LBB7_883
; %bb.881:
	s_cmp_gt_i32 s6, 6
	s_cbranch_scc0 .LBB7_884
; %bb.882:
	s_waitcnt vmcnt(0)
	global_load_dwordx2 v[2:3], v[0:1], off
	s_mov_b32 s6, 0
	s_branch .LBB7_885
.LBB7_883:
	s_mov_b32 s6, -1
                                        ; implicit-def: $vgpr2_vgpr3
	s_branch .LBB7_888
.LBB7_884:
	s_mov_b32 s6, -1
                                        ; implicit-def: $vgpr2_vgpr3
.LBB7_885:
	s_andn2_b32 vcc_lo, exec_lo, s6
	s_cbranch_vccnz .LBB7_887
; %bb.886:
	s_waitcnt vmcnt(0)
	global_load_dword v2, v[0:1], off
	s_waitcnt vmcnt(0)
	v_cvt_f64_f32_e32 v[2:3], v2
.LBB7_887:
	s_mov_b32 s6, 0
.LBB7_888:
	s_andn2_b32 vcc_lo, exec_lo, s6
	s_cbranch_vccnz .LBB7_890
; %bb.889:
	s_waitcnt vmcnt(0)
	global_load_ushort v2, v[0:1], off
	s_waitcnt vmcnt(0)
	v_cvt_f32_f16_e32 v2, v2
	v_cvt_f64_f32_e32 v[2:3], v2
.LBB7_890:
	s_cbranch_execnz .LBB7_909
.LBB7_891:
	s_sext_i32_i16 s6, s33
	s_cmp_lt_i32 s6, 2
	s_cbranch_scc1 .LBB7_895
; %bb.892:
	s_cmp_lt_i32 s6, 3
	s_cbranch_scc1 .LBB7_896
; %bb.893:
	s_cmp_gt_i32 s6, 3
	s_cbranch_scc0 .LBB7_897
; %bb.894:
	s_waitcnt vmcnt(0)
	global_load_dwordx2 v[2:3], v[0:1], off
	s_mov_b32 s6, 0
	s_waitcnt vmcnt(0)
	v_cvt_f64_i32_e32 v[3:4], v3
	v_cvt_f64_u32_e32 v[5:6], v2
	v_ldexp_f64 v[3:4], v[3:4], 32
	v_add_f64 v[2:3], v[3:4], v[5:6]
	s_branch .LBB7_898
.LBB7_895:
                                        ; implicit-def: $vgpr2_vgpr3
	s_branch .LBB7_904
.LBB7_896:
	s_mov_b32 s6, -1
                                        ; implicit-def: $vgpr2_vgpr3
	s_branch .LBB7_901
.LBB7_897:
	s_mov_b32 s6, -1
                                        ; implicit-def: $vgpr2_vgpr3
.LBB7_898:
	s_andn2_b32 vcc_lo, exec_lo, s6
	s_cbranch_vccnz .LBB7_900
; %bb.899:
	s_waitcnt vmcnt(0)
	global_load_dword v2, v[0:1], off
	s_waitcnt vmcnt(0)
	v_cvt_f64_i32_e32 v[2:3], v2
.LBB7_900:
	s_mov_b32 s6, 0
.LBB7_901:
	s_andn2_b32 vcc_lo, exec_lo, s6
	s_cbranch_vccnz .LBB7_903
; %bb.902:
	s_waitcnt vmcnt(0)
	global_load_sshort v2, v[0:1], off
	s_waitcnt vmcnt(0)
	v_cvt_f64_i32_e32 v[2:3], v2
.LBB7_903:
	s_cbranch_execnz .LBB7_909
.LBB7_904:
	s_sext_i32_i16 s6, s33
	s_cmp_gt_i32 s6, 0
	s_mov_b32 s6, 0
	s_cbranch_scc0 .LBB7_906
; %bb.905:
	s_waitcnt vmcnt(0)
	global_load_sbyte v2, v[0:1], off
	s_waitcnt vmcnt(0)
	v_cvt_f64_i32_e32 v[2:3], v2
	s_branch .LBB7_907
.LBB7_906:
	s_mov_b32 s6, -1
                                        ; implicit-def: $vgpr2_vgpr3
.LBB7_907:
	s_andn2_b32 vcc_lo, exec_lo, s6
	s_cbranch_vccnz .LBB7_909
; %bb.908:
	s_waitcnt vmcnt(0)
	global_load_ubyte v0, v[0:1], off
	s_waitcnt vmcnt(0)
	v_cvt_f64_u32_e32 v[2:3], v0
.LBB7_909:
	s_or_b32 s4, s4, exec_lo
.LBB7_910:
	s_or_b32 exec_lo, exec_lo, s5
	s_mov_b32 s7, 0
	s_mov_b32 s6, 0
                                        ; implicit-def: $sgpr5
                                        ; implicit-def: $vgpr4_vgpr5
                                        ; implicit-def: $vgpr0_vgpr1
	s_and_saveexec_b32 s41, s4
	s_cbranch_execz .LBB7_918
; %bb.911:
	s_waitcnt vmcnt(0)
	v_mov_b32_e32 v0, v2
	v_mov_b32_e32 v1, v3
	s_getpc_b64 s[4:5]
	s_add_u32 s4, s4, _ZZZZN2at6native12_GLOBAL__N_121bessel_j1_kernel_cudaERNS_18TensorIteratorBaseEENKUlvE_clEvENKUlvE_clEvENKUldE_clEd@rel32@lo+4
	s_addc_u32 s5, s5, _ZZZZN2at6native12_GLOBAL__N_121bessel_j1_kernel_cudaERNS_18TensorIteratorBaseEENKUlvE_clEvENKUlvE_clEvENKUldE_clEd@rel32@hi+12
	s_swappc_b64 s[30:31], s[4:5]
	v_mul_lo_u32 v2, v46, s26
	s_and_b32 s5, s28, 0xff
	s_cmp_lt_i32 s5, 11
	v_ashrrev_i32_e32 v3, 31, v2
	v_add_co_u32 v4, vcc_lo, s36, v2
	v_add_co_ci_u32_e64 v5, null, s37, v3, vcc_lo
	s_cbranch_scc1 .LBB7_921
; %bb.912:
	s_and_b32 s6, 0xffff, s5
	s_mov_b32 s7, -1
	s_cmp_gt_i32 s6, 25
	s_mov_b32 s4, s35
	s_cbranch_scc0 .LBB7_949
; %bb.913:
	s_cmp_gt_i32 s6, 28
	s_mov_b32 s4, s35
	s_cbranch_scc0 .LBB7_933
; %bb.914:
	;; [unrolled: 4-line block ×4, first 2 shown]
	s_cmp_eq_u32 s6, 46
	s_mov_b32 s4, -1
	s_cbranch_scc0 .LBB7_922
; %bb.917:
	v_cvt_f32_f64_e32 v2, v[0:1]
	s_mov_b32 s4, 0
	s_mov_b32 s7, 0
	v_bfe_u32 v3, v2, 16, 1
	v_cmp_o_f32_e32 vcc_lo, v2, v2
	v_add3_u32 v2, v2, v3, 0x7fff
	v_mov_b32_e32 v3, 0x7fc0
	v_cndmask_b32_sdwa v2, v3, v2, vcc_lo dst_sel:DWORD dst_unused:UNUSED_PAD src0_sel:DWORD src1_sel:WORD_1
	global_store_dword v[4:5], v2, off
	s_branch .LBB7_923
.LBB7_918:
	s_or_b32 exec_lo, exec_lo, s41
	s_and_saveexec_b32 s4, s35
	s_cbranch_execnz .LBB7_991
.LBB7_919:
	s_or_b32 exec_lo, exec_lo, s4
	s_and_saveexec_b32 s4, s7
	s_xor_b32 s4, exec_lo, s4
	s_cbranch_execz .LBB7_992
.LBB7_920:
	s_waitcnt vmcnt(0)
	v_cmp_neq_f64_e32 vcc_lo, 0, v[0:1]
	v_cndmask_b32_e64 v2, 0, 1, vcc_lo
	global_store_byte v[4:5], v2, off
	s_or_b32 exec_lo, exec_lo, s4
	s_and_saveexec_b32 s4, s6
	s_xor_b32 s4, exec_lo, s4
	s_cbranch_execz .LBB7_1030
	s_branch .LBB7_993
.LBB7_921:
	s_mov_b32 s8, 0
	s_mov_b32 s7, -1
	s_mov_b32 s4, s35
	s_branch .LBB7_990
.LBB7_922:
	s_mov_b32 s7, 0
.LBB7_923:
	s_and_b32 vcc_lo, exec_lo, s7
	s_cbranch_vccz .LBB7_928
; %bb.924:
	s_cmp_eq_u32 s6, 44
	s_mov_b32 s4, -1
	s_cbranch_scc0 .LBB7_928
; %bb.925:
	v_cvt_f32_f64_e32 v2, v[0:1]
	v_mov_b32_e32 v3, 0xff
	s_mov_b32 s7, exec_lo
	v_bfe_u32 v6, v2, 23, 8
	v_cmpx_ne_u32_e32 0xff, v6
	s_cbranch_execz .LBB7_927
; %bb.926:
	v_and_b32_e32 v3, 0x400000, v2
	v_and_or_b32 v6, 0x3fffff, v2, v6
	v_lshrrev_b32_e32 v2, 23, v2
	v_cmp_ne_u32_e32 vcc_lo, 0, v3
	v_cmp_ne_u32_e64 s4, 0, v6
	s_and_b32 s4, vcc_lo, s4
	v_cndmask_b32_e64 v3, 0, 1, s4
	v_add_nc_u32_e32 v3, v2, v3
.LBB7_927:
	s_or_b32 exec_lo, exec_lo, s7
	s_mov_b32 s4, 0
	global_store_byte v[4:5], v3, off
.LBB7_928:
	s_mov_b32 s7, 0
.LBB7_929:
	s_and_b32 vcc_lo, exec_lo, s7
	s_cbranch_vccz .LBB7_932
; %bb.930:
	s_cmp_eq_u32 s6, 29
	s_mov_b32 s4, -1
	s_cbranch_scc0 .LBB7_932
; %bb.931:
	v_trunc_f64_e32 v[2:3], v[0:1]
	s_mov_b32 s4, 0
	s_mov_b32 s7, 0
	v_ldexp_f64 v[6:7], v[2:3], 0xffffffe0
	v_floor_f64_e32 v[6:7], v[6:7]
	v_fma_f64 v[2:3], 0xc1f00000, v[6:7], v[2:3]
	v_cvt_u32_f64_e32 v7, v[6:7]
	v_cvt_u32_f64_e32 v6, v[2:3]
	global_store_dwordx2 v[4:5], v[6:7], off
	s_branch .LBB7_933
.LBB7_932:
	s_mov_b32 s7, 0
.LBB7_933:
	s_and_b32 vcc_lo, exec_lo, s7
	s_cbranch_vccz .LBB7_948
; %bb.934:
	s_cmp_lt_i32 s6, 27
	s_mov_b32 s7, -1
	s_cbranch_scc1 .LBB7_940
; %bb.935:
	v_cvt_u32_f64_e32 v2, v[0:1]
	s_cmp_gt_i32 s6, 27
	s_cbranch_scc0 .LBB7_937
; %bb.936:
	s_mov_b32 s7, 0
	global_store_dword v[4:5], v2, off
.LBB7_937:
	s_andn2_b32 vcc_lo, exec_lo, s7
	s_cbranch_vccnz .LBB7_939
; %bb.938:
	global_store_short v[4:5], v2, off
.LBB7_939:
	s_mov_b32 s7, 0
.LBB7_940:
	s_andn2_b32 vcc_lo, exec_lo, s7
	s_cbranch_vccnz .LBB7_948
; %bb.941:
	v_cvt_f32_f64_e32 v2, v[0:1]
	v_mov_b32_e32 v6, 0x80
	s_mov_b32 s7, exec_lo
	v_and_b32_e32 v3, 0x7fffffff, v2
	v_cmpx_gt_u32_e32 0x43800000, v3
	s_cbranch_execz .LBB7_947
; %bb.942:
	v_cmp_lt_u32_e32 vcc_lo, 0x3bffffff, v3
	s_mov_b32 s8, 0
                                        ; implicit-def: $vgpr3
	s_and_saveexec_b32 s9, vcc_lo
	s_xor_b32 s9, exec_lo, s9
	s_cbranch_execz .LBB7_1045
; %bb.943:
	v_bfe_u32 v3, v2, 20, 1
	s_mov_b32 s8, exec_lo
	v_add3_u32 v3, v2, v3, 0x487ffff
	v_lshrrev_b32_e32 v3, 20, v3
	s_andn2_saveexec_b32 s9, s9
	s_cbranch_execnz .LBB7_1046
.LBB7_944:
	s_or_b32 exec_lo, exec_lo, s9
	v_mov_b32_e32 v6, 0
	s_and_saveexec_b32 s9, s8
.LBB7_945:
	v_lshrrev_b32_e32 v2, 24, v2
	v_and_or_b32 v6, 0x80, v2, v3
.LBB7_946:
	s_or_b32 exec_lo, exec_lo, s9
.LBB7_947:
	s_or_b32 exec_lo, exec_lo, s7
	global_store_byte v[4:5], v6, off
.LBB7_948:
	s_mov_b32 s7, 0
.LBB7_949:
	s_and_b32 vcc_lo, exec_lo, s7
	s_mov_b32 s7, 0
	s_cbranch_vccz .LBB7_989
; %bb.950:
	s_cmp_gt_i32 s6, 22
	s_mov_b32 s8, -1
	s_cbranch_scc0 .LBB7_982
; %bb.951:
	s_cmp_lt_i32 s6, 24
	s_cbranch_scc1 .LBB7_971
; %bb.952:
	s_cmp_gt_i32 s6, 24
	s_cbranch_scc0 .LBB7_960
; %bb.953:
	v_cvt_f32_f64_e32 v2, v[0:1]
	v_mov_b32_e32 v6, 0x80
	s_mov_b32 s8, exec_lo
	v_and_b32_e32 v3, 0x7fffffff, v2
	v_cmpx_gt_u32_e32 0x47800000, v3
	s_cbranch_execz .LBB7_959
; %bb.954:
	v_cmp_lt_u32_e32 vcc_lo, 0x37ffffff, v3
	s_mov_b32 s9, 0
                                        ; implicit-def: $vgpr3
	s_and_saveexec_b32 s10, vcc_lo
	s_xor_b32 s10, exec_lo, s10
	s_cbranch_execz .LBB7_1171
; %bb.955:
	v_bfe_u32 v3, v2, 21, 1
	s_mov_b32 s9, exec_lo
	v_add3_u32 v3, v2, v3, 0x88fffff
	v_lshrrev_b32_e32 v3, 21, v3
	s_andn2_saveexec_b32 s10, s10
	s_cbranch_execnz .LBB7_1172
.LBB7_956:
	s_or_b32 exec_lo, exec_lo, s10
	v_mov_b32_e32 v6, 0
	s_and_saveexec_b32 s10, s9
.LBB7_957:
	v_lshrrev_b32_e32 v2, 24, v2
	v_and_or_b32 v6, 0x80, v2, v3
.LBB7_958:
	s_or_b32 exec_lo, exec_lo, s10
.LBB7_959:
	s_or_b32 exec_lo, exec_lo, s8
	s_mov_b32 s8, 0
	global_store_byte v[4:5], v6, off
.LBB7_960:
	s_and_b32 vcc_lo, exec_lo, s8
	s_cbranch_vccz .LBB7_970
; %bb.961:
	v_cvt_f32_f64_e32 v2, v[0:1]
	s_mov_b32 s8, exec_lo
                                        ; implicit-def: $vgpr3
	v_and_b32_e32 v6, 0x7fffffff, v2
	v_cmpx_gt_u32_e32 0x43f00000, v6
	s_xor_b32 s8, exec_lo, s8
	s_cbranch_execz .LBB7_967
; %bb.962:
	s_mov_b32 s9, exec_lo
                                        ; implicit-def: $vgpr3
	v_cmpx_lt_u32_e32 0x3c7fffff, v6
	s_xor_b32 s9, exec_lo, s9
; %bb.963:
	v_bfe_u32 v3, v2, 20, 1
	v_add3_u32 v3, v2, v3, 0x407ffff
	v_and_b32_e32 v6, 0xff00000, v3
	v_lshrrev_b32_e32 v3, 20, v3
	v_cmp_ne_u32_e32 vcc_lo, 0x7f00000, v6
	v_cndmask_b32_e32 v3, 0x7e, v3, vcc_lo
; %bb.964:
	s_andn2_saveexec_b32 s9, s9
; %bb.965:
	v_add_f32_e64 v3, 0x46800000, |v2|
; %bb.966:
	s_or_b32 exec_lo, exec_lo, s9
                                        ; implicit-def: $vgpr6
.LBB7_967:
	s_andn2_saveexec_b32 s8, s8
; %bb.968:
	v_mov_b32_e32 v3, 0x7f
	v_cmp_lt_u32_e32 vcc_lo, 0x7f800000, v6
	v_cndmask_b32_e32 v3, 0x7e, v3, vcc_lo
; %bb.969:
	s_or_b32 exec_lo, exec_lo, s8
	v_lshrrev_b32_e32 v2, 24, v2
	v_and_or_b32 v2, 0x80, v2, v3
	global_store_byte v[4:5], v2, off
.LBB7_970:
	s_mov_b32 s8, 0
.LBB7_971:
	s_andn2_b32 vcc_lo, exec_lo, s8
	s_cbranch_vccnz .LBB7_981
; %bb.972:
	v_cvt_f32_f64_e32 v2, v[0:1]
	s_mov_b32 s8, exec_lo
                                        ; implicit-def: $vgpr3
	v_and_b32_e32 v6, 0x7fffffff, v2
	v_cmpx_gt_u32_e32 0x47800000, v6
	s_xor_b32 s8, exec_lo, s8
	s_cbranch_execz .LBB7_978
; %bb.973:
	s_mov_b32 s9, exec_lo
                                        ; implicit-def: $vgpr3
	v_cmpx_lt_u32_e32 0x387fffff, v6
	s_xor_b32 s9, exec_lo, s9
; %bb.974:
	v_bfe_u32 v3, v2, 21, 1
	v_add3_u32 v3, v2, v3, 0x80fffff
	v_lshrrev_b32_e32 v3, 21, v3
; %bb.975:
	s_andn2_saveexec_b32 s9, s9
; %bb.976:
	v_add_f32_e64 v3, 0x43000000, |v2|
; %bb.977:
	s_or_b32 exec_lo, exec_lo, s9
                                        ; implicit-def: $vgpr6
.LBB7_978:
	s_andn2_saveexec_b32 s8, s8
; %bb.979:
	v_mov_b32_e32 v3, 0x7f
	v_cmp_lt_u32_e32 vcc_lo, 0x7f800000, v6
	v_cndmask_b32_e32 v3, 0x7c, v3, vcc_lo
; %bb.980:
	s_or_b32 exec_lo, exec_lo, s8
	v_lshrrev_b32_e32 v2, 24, v2
	v_and_or_b32 v2, 0x80, v2, v3
	global_store_byte v[4:5], v2, off
.LBB7_981:
	s_mov_b32 s8, 0
.LBB7_982:
	s_andn2_b32 vcc_lo, exec_lo, s8
	s_mov_b32 s8, 0
	s_cbranch_vccnz .LBB7_990
; %bb.983:
	s_cmp_gt_i32 s6, 14
	s_mov_b32 s8, -1
	s_cbranch_scc0 .LBB7_987
; %bb.984:
	s_cmp_eq_u32 s6, 15
	s_mov_b32 s4, -1
	s_cbranch_scc0 .LBB7_986
; %bb.985:
	v_cvt_f32_f64_e32 v2, v[0:1]
	s_mov_b32 s4, 0
	v_bfe_u32 v3, v2, 16, 1
	v_cmp_o_f32_e32 vcc_lo, v2, v2
	v_add3_u32 v2, v2, v3, 0x7fff
	v_mov_b32_e32 v3, 0x7fc0
	v_cndmask_b32_sdwa v2, v3, v2, vcc_lo dst_sel:DWORD dst_unused:UNUSED_PAD src0_sel:DWORD src1_sel:WORD_1
	global_store_short v[4:5], v2, off
.LBB7_986:
	s_mov_b32 s8, 0
.LBB7_987:
	s_and_b32 vcc_lo, exec_lo, s8
	s_mov_b32 s8, 0
	s_cbranch_vccz .LBB7_990
; %bb.988:
	s_cmp_lg_u32 s6, 11
	s_mov_b32 s8, -1
	s_cselect_b32 s6, -1, 0
	s_andn2_b32 s4, s4, exec_lo
	s_and_b32 s6, s6, exec_lo
	s_or_b32 s4, s4, s6
	s_branch .LBB7_990
.LBB7_989:
	s_mov_b32 s8, 0
.LBB7_990:
	s_andn2_b32 s9, s35, exec_lo
	s_and_b32 s4, s4, exec_lo
	s_and_b32 s6, s7, exec_lo
	;; [unrolled: 1-line block ×3, first 2 shown]
	s_or_b32 s35, s9, s4
	s_or_b32 exec_lo, exec_lo, s41
	s_and_saveexec_b32 s4, s35
	s_cbranch_execz .LBB7_919
.LBB7_991:
	s_or_b32 s40, s40, exec_lo
	s_andn2_b32 s7, s7, exec_lo
	s_trap 2
	s_or_b32 exec_lo, exec_lo, s4
	s_and_saveexec_b32 s4, s7
	s_xor_b32 s4, exec_lo, s4
	s_cbranch_execnz .LBB7_920
.LBB7_992:
	s_or_b32 exec_lo, exec_lo, s4
	s_and_saveexec_b32 s4, s6
	s_xor_b32 s4, exec_lo, s4
	s_cbranch_execz .LBB7_1030
.LBB7_993:
	s_sext_i32_i16 s7, s5
	s_mov_b32 s6, -1
	s_cmp_lt_i32 s7, 5
	s_cbranch_scc1 .LBB7_1014
; %bb.994:
	s_cmp_lt_i32 s7, 8
	s_cbranch_scc1 .LBB7_1004
; %bb.995:
	;; [unrolled: 3-line block ×3, first 2 shown]
	s_cmp_gt_i32 s7, 9
	s_cbranch_scc0 .LBB7_998
; %bb.997:
	s_waitcnt vmcnt(0)
	v_mov_b32_e32 v2, 0
	s_mov_b32 s6, 0
	v_mov_b32_e32 v3, v2
	global_store_dwordx4 v[4:5], v[0:3], off
.LBB7_998:
	s_andn2_b32 vcc_lo, exec_lo, s6
	s_cbranch_vccnz .LBB7_1000
; %bb.999:
	s_waitcnt vmcnt(0)
	v_cvt_f32_f64_e32 v2, v[0:1]
	v_mov_b32_e32 v3, 0
	global_store_dwordx2 v[4:5], v[2:3], off
.LBB7_1000:
	s_mov_b32 s6, 0
.LBB7_1001:
	s_andn2_b32 vcc_lo, exec_lo, s6
	s_cbranch_vccnz .LBB7_1003
; %bb.1002:
	s_waitcnt vmcnt(0)
	v_and_or_b32 v2, 0x1ff, v1, v0
	v_lshrrev_b32_e32 v3, 8, v1
	v_bfe_u32 v6, v1, 20, 11
	v_cmp_ne_u32_e32 vcc_lo, 0, v2
	v_sub_nc_u32_e32 v7, 0x3f1, v6
	v_add_nc_u32_e32 v6, 0xfffffc10, v6
	v_cndmask_b32_e64 v2, 0, 1, vcc_lo
	v_and_or_b32 v2, 0xffe, v3, v2
	v_med3_i32 v3, v7, 0, 13
	v_or_b32_e32 v7, 0x1000, v2
	v_lshrrev_b32_e32 v8, v3, v7
	v_lshlrev_b32_e32 v3, v3, v8
	v_cmp_ne_u32_e32 vcc_lo, v3, v7
	v_lshl_or_b32 v7, v6, 12, v2
	v_cndmask_b32_e64 v3, 0, 1, vcc_lo
	v_cmp_gt_i32_e32 vcc_lo, 1, v6
	v_or_b32_e32 v3, v8, v3
	v_cndmask_b32_e32 v3, v7, v3, vcc_lo
	v_and_b32_e32 v7, 7, v3
	v_lshrrev_b32_e32 v3, 2, v3
	v_cmp_lt_i32_e32 vcc_lo, 5, v7
	v_cndmask_b32_e64 v8, 0, 1, vcc_lo
	v_cmp_eq_u32_e32 vcc_lo, 3, v7
	v_cndmask_b32_e64 v7, 0, 1, vcc_lo
	v_cmp_ne_u32_e32 vcc_lo, 0, v2
	v_or_b32_e32 v7, v7, v8
	v_mov_b32_e32 v8, 0x7e00
	v_add_nc_u32_e32 v3, v3, v7
	v_cndmask_b32_e32 v2, 0x7c00, v8, vcc_lo
	v_cmp_gt_i32_e32 vcc_lo, 31, v6
	v_cndmask_b32_e32 v3, 0x7c00, v3, vcc_lo
	v_cmp_eq_u32_e32 vcc_lo, 0x40f, v6
	v_cndmask_b32_e32 v2, v3, v2, vcc_lo
	v_lshrrev_b32_e32 v3, 16, v1
	v_and_or_b32 v2, 0x8000, v3, v2
	v_and_b32_e32 v2, 0xffff, v2
	global_store_dword v[4:5], v2, off
.LBB7_1003:
	s_mov_b32 s6, 0
.LBB7_1004:
	s_andn2_b32 vcc_lo, exec_lo, s6
	s_cbranch_vccnz .LBB7_1013
; %bb.1005:
	s_sext_i32_i16 s7, s5
	s_mov_b32 s6, -1
	s_cmp_lt_i32 s7, 6
	s_cbranch_scc1 .LBB7_1011
; %bb.1006:
	s_cmp_gt_i32 s7, 6
	s_cbranch_scc0 .LBB7_1008
; %bb.1007:
	s_mov_b32 s6, 0
	s_waitcnt vmcnt(0)
	global_store_dwordx2 v[4:5], v[0:1], off
.LBB7_1008:
	s_andn2_b32 vcc_lo, exec_lo, s6
	s_cbranch_vccnz .LBB7_1010
; %bb.1009:
	s_waitcnt vmcnt(0)
	v_cvt_f32_f64_e32 v2, v[0:1]
	global_store_dword v[4:5], v2, off
.LBB7_1010:
	s_mov_b32 s6, 0
.LBB7_1011:
	s_andn2_b32 vcc_lo, exec_lo, s6
	s_cbranch_vccnz .LBB7_1013
; %bb.1012:
	s_waitcnt vmcnt(0)
	v_and_or_b32 v2, 0x1ff, v1, v0
	v_lshrrev_b32_e32 v3, 8, v1
	v_bfe_u32 v6, v1, 20, 11
	v_cmp_ne_u32_e32 vcc_lo, 0, v2
	v_sub_nc_u32_e32 v7, 0x3f1, v6
	v_add_nc_u32_e32 v6, 0xfffffc10, v6
	v_cndmask_b32_e64 v2, 0, 1, vcc_lo
	v_and_or_b32 v2, 0xffe, v3, v2
	v_med3_i32 v3, v7, 0, 13
	v_or_b32_e32 v7, 0x1000, v2
	v_lshrrev_b32_e32 v8, v3, v7
	v_lshlrev_b32_e32 v3, v3, v8
	v_cmp_ne_u32_e32 vcc_lo, v3, v7
	v_lshl_or_b32 v7, v6, 12, v2
	v_cndmask_b32_e64 v3, 0, 1, vcc_lo
	v_cmp_gt_i32_e32 vcc_lo, 1, v6
	v_or_b32_e32 v3, v8, v3
	v_cndmask_b32_e32 v3, v7, v3, vcc_lo
	v_and_b32_e32 v7, 7, v3
	v_lshrrev_b32_e32 v3, 2, v3
	v_cmp_lt_i32_e32 vcc_lo, 5, v7
	v_cndmask_b32_e64 v8, 0, 1, vcc_lo
	v_cmp_eq_u32_e32 vcc_lo, 3, v7
	v_cndmask_b32_e64 v7, 0, 1, vcc_lo
	v_cmp_ne_u32_e32 vcc_lo, 0, v2
	v_or_b32_e32 v7, v7, v8
	v_mov_b32_e32 v8, 0x7e00
	v_add_nc_u32_e32 v3, v3, v7
	v_cndmask_b32_e32 v2, 0x7c00, v8, vcc_lo
	v_cmp_gt_i32_e32 vcc_lo, 31, v6
	v_cndmask_b32_e32 v3, 0x7c00, v3, vcc_lo
	v_cmp_eq_u32_e32 vcc_lo, 0x40f, v6
	v_cndmask_b32_e32 v2, v3, v2, vcc_lo
	v_lshrrev_b32_e32 v3, 16, v1
	v_and_or_b32 v2, 0x8000, v3, v2
	global_store_short v[4:5], v2, off
.LBB7_1013:
	s_mov_b32 s6, 0
.LBB7_1014:
	s_andn2_b32 vcc_lo, exec_lo, s6
	s_cbranch_vccnz .LBB7_1030
; %bb.1015:
	s_sext_i32_i16 s7, s5
	s_mov_b32 s6, -1
	s_cmp_lt_i32 s7, 2
	s_cbranch_scc1 .LBB7_1025
; %bb.1016:
	s_cmp_lt_i32 s7, 3
	s_cbranch_scc1 .LBB7_1022
; %bb.1017:
	s_cmp_gt_i32 s7, 3
	s_cbranch_scc0 .LBB7_1019
; %bb.1018:
	s_waitcnt vmcnt(0)
	v_trunc_f64_e32 v[2:3], v[0:1]
	s_mov_b32 s6, 0
	v_ldexp_f64 v[6:7], v[2:3], 0xffffffe0
	v_floor_f64_e32 v[6:7], v[6:7]
	v_fma_f64 v[2:3], 0xc1f00000, v[6:7], v[2:3]
	v_cvt_i32_f64_e32 v7, v[6:7]
	v_cvt_u32_f64_e32 v6, v[2:3]
	global_store_dwordx2 v[4:5], v[6:7], off
.LBB7_1019:
	s_andn2_b32 vcc_lo, exec_lo, s6
	s_cbranch_vccnz .LBB7_1021
; %bb.1020:
	s_waitcnt vmcnt(0)
	v_cvt_i32_f64_e32 v2, v[0:1]
	global_store_dword v[4:5], v2, off
.LBB7_1021:
	s_mov_b32 s6, 0
.LBB7_1022:
	s_andn2_b32 vcc_lo, exec_lo, s6
	s_cbranch_vccnz .LBB7_1024
; %bb.1023:
	s_waitcnt vmcnt(0)
	v_cvt_i32_f64_e32 v2, v[0:1]
	global_store_short v[4:5], v2, off
.LBB7_1024:
	s_mov_b32 s6, 0
.LBB7_1025:
	s_andn2_b32 vcc_lo, exec_lo, s6
	s_cbranch_vccnz .LBB7_1030
; %bb.1026:
	s_sext_i32_i16 s5, s5
	s_cmp_gt_i32 s5, 0
	s_mov_b32 s5, -1
	s_cbranch_scc0 .LBB7_1028
; %bb.1027:
	s_waitcnt vmcnt(0)
	v_cvt_i32_f64_e32 v2, v[0:1]
	s_mov_b32 s5, 0
	global_store_byte v[4:5], v2, off
.LBB7_1028:
	s_andn2_b32 vcc_lo, exec_lo, s5
	s_cbranch_vccnz .LBB7_1030
; %bb.1029:
	s_waitcnt vmcnt(0)
	v_trunc_f64_e32 v[0:1], v[0:1]
	v_ldexp_f64 v[2:3], v[0:1], 0xffffffe0
	v_floor_f64_e32 v[2:3], v[2:3]
	v_fma_f64 v[0:1], 0xc1f00000, v[2:3], v[0:1]
	v_cvt_u32_f64_e32 v0, v[0:1]
	global_store_byte v[4:5], v0, off
.LBB7_1030:
	s_or_b32 exec_lo, exec_lo, s4
	s_and_b32 s35, s40, exec_lo
                                        ; implicit-def: $vgpr46
.LBB7_1031:
	s_or_saveexec_b32 s34, s34
	s_mov_b32 s4, 0
                                        ; implicit-def: $sgpr40
                                        ; implicit-def: $vgpr4_vgpr5
                                        ; implicit-def: $vgpr0_vgpr1
	s_xor_b32 exec_lo, exec_lo, s34
	s_cbranch_execz .LBB7_1983
; %bb.1032:
	v_mul_lo_u32 v4, s27, v46
	s_and_b32 s4, 0xffff, s33
	s_cmp_lt_i32 s4, 11
	s_waitcnt vmcnt(0)
	v_ashrrev_i32_e32 v0, 31, v4
	v_add_co_u32 v2, vcc_lo, s38, v4
	v_add_co_ci_u32_e64 v3, null, s39, v0, vcc_lo
	s_cbranch_scc1 .LBB7_1039
; %bb.1033:
	s_cmp_gt_i32 s4, 25
	s_mov_b32 s6, 0
	s_cbranch_scc0 .LBB7_1041
; %bb.1034:
	s_cmp_gt_i32 s4, 28
	s_cbranch_scc0 .LBB7_1042
; %bb.1035:
	s_cmp_gt_i32 s4, 43
	;; [unrolled: 3-line block ×3, first 2 shown]
	s_cbranch_scc0 .LBB7_1044
; %bb.1037:
	s_cmp_eq_u32 s4, 46
	s_mov_b32 s8, 0
	s_cbranch_scc0 .LBB7_1047
; %bb.1038:
	global_load_dword v0, v[2:3], off
	s_mov_b32 s5, 0
	s_mov_b32 s7, -1
	s_waitcnt vmcnt(0)
	v_lshlrev_b32_e32 v0, 16, v0
	v_cvt_f64_f32_e32 v[0:1], v0
	s_branch .LBB7_1049
.LBB7_1039:
	s_mov_b32 s7, 0
	s_mov_b32 s29, s35
                                        ; implicit-def: $vgpr0_vgpr1
	s_cbranch_execnz .LBB7_1112
.LBB7_1040:
	s_andn2_b32 vcc_lo, exec_lo, s7
                                        ; implicit-def: $vgpr2_vgpr3
	s_cbranch_vccz .LBB7_1157
	s_branch .LBB7_1981
.LBB7_1041:
	s_mov_b32 s7, 0
	s_mov_b32 s5, 0
                                        ; implicit-def: $vgpr0_vgpr1
	s_cbranch_execnz .LBB7_1079
	s_branch .LBB7_1108
.LBB7_1042:
	s_mov_b32 s8, -1
	s_mov_b32 s7, 0
	s_mov_b32 s5, 0
                                        ; implicit-def: $vgpr0_vgpr1
	s_branch .LBB7_1058
.LBB7_1043:
	s_mov_b32 s7, 0
	s_mov_b32 s5, 0
                                        ; implicit-def: $vgpr0_vgpr1
	s_cbranch_execnz .LBB7_1054
	s_branch .LBB7_1057
.LBB7_1044:
	s_mov_b32 s8, -1
	s_mov_b32 s7, 0
	s_mov_b32 s5, 0
	s_branch .LBB7_1048
.LBB7_1045:
	s_andn2_saveexec_b32 s9, s9
	s_cbranch_execz .LBB7_944
.LBB7_1046:
	v_add_f32_e64 v3, 0x46000000, |v2|
	s_andn2_b32 s8, s8, exec_lo
	v_and_b32_e32 v3, 0xff, v3
	v_cmp_ne_u32_e32 vcc_lo, 0, v3
	s_and_b32 s10, vcc_lo, exec_lo
	s_or_b32 s8, s8, s10
	s_or_b32 exec_lo, exec_lo, s9
	v_mov_b32_e32 v6, 0
	s_and_saveexec_b32 s9, s8
	s_cbranch_execnz .LBB7_945
	s_branch .LBB7_946
.LBB7_1047:
	s_mov_b32 s5, -1
	s_mov_b32 s7, 0
.LBB7_1048:
                                        ; implicit-def: $vgpr0_vgpr1
.LBB7_1049:
	s_and_b32 vcc_lo, exec_lo, s8
	s_cbranch_vccz .LBB7_1052
; %bb.1050:
	s_cmp_eq_u32 s4, 44
	s_cbranch_scc0 .LBB7_1053
; %bb.1051:
	global_load_ubyte v5, v[2:3], off
	s_mov_b32 s5, 0
	s_mov_b32 s7, -1
	s_waitcnt vmcnt(0)
	v_lshlrev_b32_e32 v0, 23, v5
	v_cmp_ne_u32_e32 vcc_lo, 0xff, v5
	v_cvt_f64_f32_e32 v[0:1], v0
	v_cndmask_b32_e32 v0, 0x20000000, v0, vcc_lo
	v_cndmask_b32_e32 v1, 0x7ff80000, v1, vcc_lo
	v_cmp_ne_u32_e32 vcc_lo, 0, v5
	v_cndmask_b32_e32 v1, 0x38000000, v1, vcc_lo
	v_cndmask_b32_e32 v0, 0, v0, vcc_lo
.LBB7_1052:
	s_branch .LBB7_1057
.LBB7_1053:
	s_mov_b32 s5, -1
                                        ; implicit-def: $vgpr0_vgpr1
	s_branch .LBB7_1057
.LBB7_1054:
	s_cmp_eq_u32 s4, 29
	s_cbranch_scc0 .LBB7_1056
; %bb.1055:
	global_load_dwordx2 v[0:1], v[2:3], off
	s_mov_b32 s5, 0
	s_mov_b32 s7, -1
	s_mov_b32 s8, 0
	s_waitcnt vmcnt(0)
	v_cvt_f64_u32_e32 v[5:6], v1
	v_cvt_f64_u32_e32 v[0:1], v0
	v_ldexp_f64 v[5:6], v[5:6], 32
	v_add_f64 v[0:1], v[5:6], v[0:1]
	s_branch .LBB7_1058
.LBB7_1056:
	s_mov_b32 s5, -1
                                        ; implicit-def: $vgpr0_vgpr1
.LBB7_1057:
	s_mov_b32 s8, 0
.LBB7_1058:
	s_and_b32 vcc_lo, exec_lo, s8
	s_cbranch_vccz .LBB7_1078
; %bb.1059:
	s_cmp_lt_i32 s4, 27
	s_cbranch_scc1 .LBB7_1062
; %bb.1060:
	s_cmp_gt_i32 s4, 27
	s_cbranch_scc0 .LBB7_1063
; %bb.1061:
	global_load_dword v0, v[2:3], off
	s_mov_b32 s7, 0
	s_waitcnt vmcnt(0)
	v_cvt_f64_u32_e32 v[0:1], v0
	s_branch .LBB7_1064
.LBB7_1062:
	s_mov_b32 s7, -1
                                        ; implicit-def: $vgpr0_vgpr1
	s_branch .LBB7_1067
.LBB7_1063:
	s_mov_b32 s7, -1
                                        ; implicit-def: $vgpr0_vgpr1
.LBB7_1064:
	s_andn2_b32 vcc_lo, exec_lo, s7
	s_cbranch_vccnz .LBB7_1066
; %bb.1065:
	global_load_ushort v0, v[2:3], off
	s_waitcnt vmcnt(0)
	v_cvt_f64_u32_e32 v[0:1], v0
.LBB7_1066:
	s_mov_b32 s7, 0
.LBB7_1067:
	s_andn2_b32 vcc_lo, exec_lo, s7
	s_cbranch_vccnz .LBB7_1077
; %bb.1068:
	global_load_ubyte v5, v[2:3], off
	s_mov_b32 s7, 0
	s_mov_b32 s8, exec_lo
	s_waitcnt vmcnt(0)
	v_cmpx_lt_i16_e32 0x7f, v5
	s_xor_b32 s8, exec_lo, s8
	s_cbranch_execz .LBB7_1072
; %bb.1069:
	s_mov_b32 s7, -1
	s_mov_b32 s9, exec_lo
	v_cmpx_eq_u16_e32 0x80, v5
; %bb.1070:
	s_xor_b32 s7, exec_lo, -1
; %bb.1071:
	s_or_b32 exec_lo, exec_lo, s9
	s_and_b32 s7, s7, exec_lo
.LBB7_1072:
	s_or_saveexec_b32 s8, s8
	v_bfrev_b32_e32 v0, 4
	v_mov_b32_e32 v1, 0x7ff80000
	s_xor_b32 exec_lo, exec_lo, s8
; %bb.1073:
	v_cmp_ne_u16_e32 vcc_lo, 0, v5
	v_mov_b32_e32 v0, 0
	v_mov_b32_e32 v1, 0
	s_andn2_b32 s7, s7, exec_lo
	s_and_b32 s9, vcc_lo, exec_lo
	s_or_b32 s7, s7, s9
; %bb.1074:
	s_or_b32 exec_lo, exec_lo, s8
	s_and_saveexec_b32 s8, s7
	s_cbranch_execz .LBB7_1076
; %bb.1075:
	v_and_b32_e32 v0, 0xffff, v5
	v_lshlrev_b32_e32 v5, 24, v5
	v_and_b32_e32 v1, 7, v0
	v_bfe_u32 v8, v0, 3, 4
	v_ffbh_u32_e32 v6, v1
	v_cmp_eq_u32_e32 vcc_lo, 0, v8
	v_min_u32_e32 v6, 32, v6
	v_subrev_nc_u32_e32 v7, 28, v6
	v_sub_nc_u32_e32 v6, 29, v6
	v_lshlrev_b32_e32 v0, v7, v0
	v_cndmask_b32_e32 v6, v8, v6, vcc_lo
	v_and_b32_e32 v0, 7, v0
	v_cndmask_b32_e32 v0, v1, v0, vcc_lo
	v_and_b32_e32 v1, 0x80000000, v5
	v_lshl_add_u32 v5, v6, 23, 0x3b800000
	v_lshlrev_b32_e32 v0, 20, v0
	v_or3_b32 v0, v1, v5, v0
	v_cvt_f64_f32_e32 v[0:1], v0
.LBB7_1076:
	s_or_b32 exec_lo, exec_lo, s8
.LBB7_1077:
	s_mov_b32 s7, -1
.LBB7_1078:
	s_branch .LBB7_1108
.LBB7_1079:
	s_cmp_gt_i32 s4, 22
	s_cbranch_scc0 .LBB7_1091
; %bb.1080:
	s_cmp_lt_i32 s4, 24
	s_cbranch_scc1 .LBB7_1092
; %bb.1081:
	s_cmp_gt_i32 s4, 24
	s_cbranch_scc0 .LBB7_1093
; %bb.1082:
	global_load_ubyte v5, v[2:3], off
	s_mov_b32 s7, exec_lo
	s_waitcnt vmcnt(0)
	v_cmpx_lt_i16_e32 0x7f, v5
	s_xor_b32 s7, exec_lo, s7
	s_cbranch_execz .LBB7_1086
; %bb.1083:
	s_mov_b32 s6, -1
	s_mov_b32 s8, exec_lo
	v_cmpx_eq_u16_e32 0x80, v5
; %bb.1084:
	s_xor_b32 s6, exec_lo, -1
; %bb.1085:
	s_or_b32 exec_lo, exec_lo, s8
	s_and_b32 s6, s6, exec_lo
.LBB7_1086:
	s_or_saveexec_b32 s7, s7
	v_bfrev_b32_e32 v0, 4
	v_mov_b32_e32 v1, 0x7ff80000
	s_xor_b32 exec_lo, exec_lo, s7
; %bb.1087:
	v_cmp_ne_u16_e32 vcc_lo, 0, v5
	v_mov_b32_e32 v0, 0
	v_mov_b32_e32 v1, 0
	s_andn2_b32 s6, s6, exec_lo
	s_and_b32 s8, vcc_lo, exec_lo
	s_or_b32 s6, s6, s8
; %bb.1088:
	s_or_b32 exec_lo, exec_lo, s7
	s_and_saveexec_b32 s7, s6
	s_cbranch_execz .LBB7_1090
; %bb.1089:
	v_and_b32_e32 v0, 0xffff, v5
	v_lshlrev_b32_e32 v5, 24, v5
	v_and_b32_e32 v1, 3, v0
	v_bfe_u32 v8, v0, 2, 5
	v_ffbh_u32_e32 v6, v1
	v_cmp_eq_u32_e32 vcc_lo, 0, v8
	v_min_u32_e32 v6, 32, v6
	v_subrev_nc_u32_e32 v7, 29, v6
	v_sub_nc_u32_e32 v6, 30, v6
	v_lshlrev_b32_e32 v0, v7, v0
	v_cndmask_b32_e32 v6, v8, v6, vcc_lo
	v_and_b32_e32 v0, 3, v0
	v_cndmask_b32_e32 v0, v1, v0, vcc_lo
	v_and_b32_e32 v1, 0x80000000, v5
	v_lshl_add_u32 v5, v6, 23, 0x37800000
	v_lshlrev_b32_e32 v0, 21, v0
	v_or3_b32 v0, v1, v5, v0
	v_cvt_f64_f32_e32 v[0:1], v0
.LBB7_1090:
	s_or_b32 exec_lo, exec_lo, s7
	s_mov_b32 s6, 0
	s_branch .LBB7_1094
.LBB7_1091:
                                        ; implicit-def: $vgpr0_vgpr1
	s_mov_b32 s6, 0
	s_branch .LBB7_1100
.LBB7_1092:
	s_mov_b32 s6, -1
                                        ; implicit-def: $vgpr0_vgpr1
	s_branch .LBB7_1097
.LBB7_1093:
	s_mov_b32 s6, -1
                                        ; implicit-def: $vgpr0_vgpr1
.LBB7_1094:
	s_and_b32 vcc_lo, exec_lo, s6
	s_cbranch_vccz .LBB7_1096
; %bb.1095:
	global_load_ubyte v0, v[2:3], off
	s_waitcnt vmcnt(0)
	v_lshlrev_b32_e32 v0, 24, v0
	v_and_b32_e32 v1, 0x7f000000, v0
	v_ffbh_u32_e32 v5, v1
	v_add_nc_u32_e32 v7, 0x1000000, v1
	v_cmp_ne_u32_e32 vcc_lo, 0, v1
	v_min_u32_e32 v5, 32, v5
	v_sub_nc_u32_e64 v5, v5, 4 clamp
	v_lshlrev_b32_e32 v6, v5, v1
	v_lshlrev_b32_e32 v5, 23, v5
	v_lshrrev_b32_e32 v6, 4, v6
	v_sub_nc_u32_e32 v5, v6, v5
	v_ashrrev_i32_e32 v6, 8, v7
	v_add_nc_u32_e32 v5, 0x3c000000, v5
	v_and_or_b32 v5, 0x7f800000, v6, v5
	v_cndmask_b32_e32 v1, 0, v5, vcc_lo
	v_and_or_b32 v0, 0x80000000, v0, v1
	v_cvt_f64_f32_e32 v[0:1], v0
.LBB7_1096:
	s_mov_b32 s6, 0
.LBB7_1097:
	s_andn2_b32 vcc_lo, exec_lo, s6
	s_cbranch_vccnz .LBB7_1099
; %bb.1098:
	global_load_ubyte v0, v[2:3], off
	s_waitcnt vmcnt(0)
	v_lshlrev_b32_e32 v1, 25, v0
	v_lshlrev_b16 v0, 8, v0
	v_lshrrev_b32_e32 v5, 4, v1
	v_and_or_b32 v6, 0x7f00, v0, 0.5
	v_cmp_gt_u32_e32 vcc_lo, 0x8000000, v1
	v_bfe_i32 v0, v0, 0, 16
	v_or_b32_e32 v5, 0x70000000, v5
	v_add_f32_e32 v6, -0.5, v6
	v_mul_f32_e32 v5, 0x7800000, v5
	v_cndmask_b32_e32 v1, v5, v6, vcc_lo
	v_and_or_b32 v0, 0x80000000, v0, v1
	v_cvt_f64_f32_e32 v[0:1], v0
.LBB7_1099:
	s_mov_b32 s7, -1
	s_mov_b32 s6, 0
	s_cbranch_execnz .LBB7_1108
.LBB7_1100:
	s_cmp_gt_i32 s4, 14
	s_cbranch_scc0 .LBB7_1103
; %bb.1101:
	s_cmp_eq_u32 s4, 15
	s_cbranch_scc0 .LBB7_1104
; %bb.1102:
	global_load_ushort v0, v[2:3], off
	s_mov_b32 s5, 0
	s_mov_b32 s7, -1
	s_waitcnt vmcnt(0)
	v_lshlrev_b32_e32 v0, 16, v0
	v_cvt_f64_f32_e32 v[0:1], v0
	s_branch .LBB7_1106
.LBB7_1103:
	s_mov_b32 s6, -1
	s_branch .LBB7_1105
.LBB7_1104:
	s_mov_b32 s5, -1
.LBB7_1105:
                                        ; implicit-def: $vgpr0_vgpr1
.LBB7_1106:
	s_and_b32 vcc_lo, exec_lo, s6
	s_mov_b32 s6, 0
	s_cbranch_vccz .LBB7_1108
; %bb.1107:
	s_cmp_lg_u32 s4, 11
	s_mov_b32 s6, -1
	s_cselect_b32 s5, -1, 0
.LBB7_1108:
	s_and_b32 vcc_lo, exec_lo, s5
	s_mov_b32 s29, s35
	s_cbranch_vccnz .LBB7_1169
; %bb.1109:
	s_andn2_b32 vcc_lo, exec_lo, s6
	s_cbranch_vccnz .LBB7_1111
.LBB7_1110:
	global_load_ubyte v0, v[2:3], off
	s_mov_b32 s7, -1
	s_waitcnt vmcnt(0)
	v_cmp_ne_u16_e32 vcc_lo, 0, v0
	v_mov_b32_e32 v0, 0
	v_cndmask_b32_e64 v1, 0, 0x3ff00000, vcc_lo
.LBB7_1111:
	s_branch .LBB7_1040
.LBB7_1112:
	s_cmp_lt_i32 s4, 5
	s_cbranch_scc1 .LBB7_1117
; %bb.1113:
	s_cmp_lt_i32 s4, 8
	s_cbranch_scc1 .LBB7_1118
; %bb.1114:
	;; [unrolled: 3-line block ×3, first 2 shown]
	s_cmp_gt_i32 s4, 9
	s_cbranch_scc0 .LBB7_1120
; %bb.1116:
	global_load_dwordx2 v[0:1], v[2:3], off
	s_mov_b32 s5, 0
	s_branch .LBB7_1121
.LBB7_1117:
                                        ; implicit-def: $vgpr0_vgpr1
	s_branch .LBB7_1138
.LBB7_1118:
                                        ; implicit-def: $vgpr0_vgpr1
	s_branch .LBB7_1127
.LBB7_1119:
	s_mov_b32 s5, -1
                                        ; implicit-def: $vgpr0_vgpr1
	s_branch .LBB7_1124
.LBB7_1120:
	s_mov_b32 s5, -1
                                        ; implicit-def: $vgpr0_vgpr1
.LBB7_1121:
	s_andn2_b32 vcc_lo, exec_lo, s5
	s_cbranch_vccnz .LBB7_1123
; %bb.1122:
	global_load_dword v0, v[2:3], off
	s_waitcnt vmcnt(0)
	v_cvt_f64_f32_e32 v[0:1], v0
.LBB7_1123:
	s_mov_b32 s5, 0
.LBB7_1124:
	s_andn2_b32 vcc_lo, exec_lo, s5
	s_cbranch_vccnz .LBB7_1126
; %bb.1125:
	global_load_dword v0, v[2:3], off
	s_waitcnt vmcnt(0)
	v_cvt_f32_f16_e32 v0, v0
	v_cvt_f64_f32_e32 v[0:1], v0
.LBB7_1126:
	s_cbranch_execnz .LBB7_1137
.LBB7_1127:
	s_cmp_lt_i32 s4, 6
	s_cbranch_scc1 .LBB7_1130
; %bb.1128:
	s_cmp_gt_i32 s4, 6
	s_cbranch_scc0 .LBB7_1131
; %bb.1129:
	global_load_dwordx2 v[0:1], v[2:3], off
	s_mov_b32 s5, 0
	s_branch .LBB7_1132
.LBB7_1130:
	s_mov_b32 s5, -1
                                        ; implicit-def: $vgpr0_vgpr1
	s_branch .LBB7_1135
.LBB7_1131:
	s_mov_b32 s5, -1
                                        ; implicit-def: $vgpr0_vgpr1
.LBB7_1132:
	s_andn2_b32 vcc_lo, exec_lo, s5
	s_cbranch_vccnz .LBB7_1134
; %bb.1133:
	global_load_dword v0, v[2:3], off
	s_waitcnt vmcnt(0)
	v_cvt_f64_f32_e32 v[0:1], v0
.LBB7_1134:
	s_mov_b32 s5, 0
.LBB7_1135:
	s_andn2_b32 vcc_lo, exec_lo, s5
	s_cbranch_vccnz .LBB7_1137
; %bb.1136:
	global_load_ushort v0, v[2:3], off
	s_waitcnt vmcnt(0)
	v_cvt_f32_f16_e32 v0, v0
	v_cvt_f64_f32_e32 v[0:1], v0
.LBB7_1137:
	s_cbranch_execnz .LBB7_1156
.LBB7_1138:
	s_cmp_lt_i32 s4, 2
	s_cbranch_scc1 .LBB7_1142
; %bb.1139:
	s_cmp_lt_i32 s4, 3
	s_cbranch_scc1 .LBB7_1143
; %bb.1140:
	s_cmp_gt_i32 s4, 3
	s_cbranch_scc0 .LBB7_1144
; %bb.1141:
	global_load_dwordx2 v[0:1], v[2:3], off
	s_mov_b32 s5, 0
	s_waitcnt vmcnt(0)
	v_cvt_f64_i32_e32 v[5:6], v1
	v_cvt_f64_u32_e32 v[0:1], v0
	v_ldexp_f64 v[5:6], v[5:6], 32
	v_add_f64 v[0:1], v[5:6], v[0:1]
	s_branch .LBB7_1145
.LBB7_1142:
                                        ; implicit-def: $vgpr0_vgpr1
	s_branch .LBB7_1151
.LBB7_1143:
	s_mov_b32 s5, -1
                                        ; implicit-def: $vgpr0_vgpr1
	s_branch .LBB7_1148
.LBB7_1144:
	s_mov_b32 s5, -1
                                        ; implicit-def: $vgpr0_vgpr1
.LBB7_1145:
	s_andn2_b32 vcc_lo, exec_lo, s5
	s_cbranch_vccnz .LBB7_1147
; %bb.1146:
	global_load_dword v0, v[2:3], off
	s_waitcnt vmcnt(0)
	v_cvt_f64_i32_e32 v[0:1], v0
.LBB7_1147:
	s_mov_b32 s5, 0
.LBB7_1148:
	s_andn2_b32 vcc_lo, exec_lo, s5
	s_cbranch_vccnz .LBB7_1150
; %bb.1149:
	global_load_sshort v0, v[2:3], off
	s_waitcnt vmcnt(0)
	v_cvt_f64_i32_e32 v[0:1], v0
.LBB7_1150:
	s_cbranch_execnz .LBB7_1156
.LBB7_1151:
	s_cmp_gt_i32 s4, 0
	s_mov_b32 s5, 0
	s_cbranch_scc0 .LBB7_1153
; %bb.1152:
	global_load_sbyte v0, v[2:3], off
	s_waitcnt vmcnt(0)
	v_cvt_f64_i32_e32 v[0:1], v0
	s_branch .LBB7_1154
.LBB7_1153:
	s_mov_b32 s5, -1
                                        ; implicit-def: $vgpr0_vgpr1
.LBB7_1154:
	s_andn2_b32 vcc_lo, exec_lo, s5
	s_cbranch_vccnz .LBB7_1156
; %bb.1155:
	global_load_ubyte v0, v[2:3], off
	s_waitcnt vmcnt(0)
	v_cvt_f64_u32_e32 v[0:1], v0
.LBB7_1156:
                                        ; implicit-def: $vgpr2_vgpr3
.LBB7_1157:
	s_lshl_b32 s5, s27, 7
	s_cmp_lt_i32 s4, 11
	v_add_nc_u32_e32 v4, s5, v4
	v_ashrrev_i32_e32 v3, 31, v4
	v_add_co_u32 v2, vcc_lo, s38, v4
	v_add_co_ci_u32_e64 v3, null, s39, v3, vcc_lo
	s_cbranch_scc1 .LBB7_1164
; %bb.1158:
	s_cmp_gt_i32 s4, 25
	s_mov_b32 s7, 0
	s_cbranch_scc0 .LBB7_1166
; %bb.1159:
	s_cmp_gt_i32 s4, 28
	s_cbranch_scc0 .LBB7_1167
; %bb.1160:
	s_cmp_gt_i32 s4, 43
	;; [unrolled: 3-line block ×3, first 2 shown]
	s_cbranch_scc0 .LBB7_1170
; %bb.1162:
	s_cmp_eq_u32 s4, 46
	s_mov_b32 s9, 0
	s_cbranch_scc0 .LBB7_1173
; %bb.1163:
	global_load_dword v5, v[2:3], off
	s_mov_b32 s6, 0
	s_mov_b32 s8, -1
	s_waitcnt vmcnt(0)
	v_lshlrev_b32_e32 v5, 16, v5
	v_cvt_f64_f32_e32 v[44:45], v5
	s_branch .LBB7_1175
.LBB7_1164:
	s_mov_b32 s8, 0
                                        ; implicit-def: $vgpr44_vgpr45
	s_cbranch_execnz .LBB7_1240
.LBB7_1165:
	s_andn2_b32 vcc_lo, exec_lo, s8
	s_cbranch_vccnz .LBB7_1981
	s_branch .LBB7_1287
.LBB7_1166:
	s_mov_b32 s8, 0
	s_mov_b32 s6, 0
                                        ; implicit-def: $vgpr44_vgpr45
	s_cbranch_execnz .LBB7_1206
	s_branch .LBB7_1236
.LBB7_1167:
	s_mov_b32 s9, -1
	s_mov_b32 s8, 0
	s_mov_b32 s6, 0
                                        ; implicit-def: $vgpr44_vgpr45
	s_branch .LBB7_1185
.LBB7_1168:
	s_mov_b32 s9, -1
	s_mov_b32 s8, 0
	s_mov_b32 s6, 0
                                        ; implicit-def: $vgpr44_vgpr45
	s_branch .LBB7_1180
.LBB7_1169:
	s_or_b32 s29, s35, exec_lo
	s_trap 2
	s_cbranch_execz .LBB7_1110
	s_branch .LBB7_1111
.LBB7_1170:
	s_mov_b32 s9, -1
	s_mov_b32 s8, 0
	s_mov_b32 s6, 0
	s_branch .LBB7_1174
.LBB7_1171:
	s_andn2_saveexec_b32 s10, s10
	s_cbranch_execz .LBB7_956
.LBB7_1172:
	v_add_f32_e64 v3, 0x42800000, |v2|
	s_andn2_b32 s9, s9, exec_lo
	v_and_b32_e32 v3, 0xff, v3
	v_cmp_ne_u32_e32 vcc_lo, 0, v3
	s_and_b32 s11, vcc_lo, exec_lo
	s_or_b32 s9, s9, s11
	s_or_b32 exec_lo, exec_lo, s10
	v_mov_b32_e32 v6, 0
	s_and_saveexec_b32 s10, s9
	s_cbranch_execnz .LBB7_957
	s_branch .LBB7_958
.LBB7_1173:
	s_mov_b32 s6, -1
	s_mov_b32 s8, 0
.LBB7_1174:
                                        ; implicit-def: $vgpr44_vgpr45
.LBB7_1175:
	s_and_b32 vcc_lo, exec_lo, s9
	s_cbranch_vccz .LBB7_1179
; %bb.1176:
	s_cmp_eq_u32 s4, 44
	s_cbranch_scc0 .LBB7_1178
; %bb.1177:
	global_load_ubyte v7, v[2:3], off
	s_mov_b32 s6, 0
	s_mov_b32 s8, -1
	s_waitcnt vmcnt(0)
	v_lshlrev_b32_e32 v5, 23, v7
	v_cmp_ne_u32_e32 vcc_lo, 0xff, v7
	v_cvt_f64_f32_e32 v[5:6], v5
	v_cndmask_b32_e32 v5, 0x20000000, v5, vcc_lo
	v_cndmask_b32_e32 v6, 0x7ff80000, v6, vcc_lo
	v_cmp_ne_u32_e32 vcc_lo, 0, v7
	v_cndmask_b32_e32 v45, 0x38000000, v6, vcc_lo
	v_cndmask_b32_e32 v44, 0, v5, vcc_lo
	s_branch .LBB7_1179
.LBB7_1178:
	s_mov_b32 s6, -1
                                        ; implicit-def: $vgpr44_vgpr45
.LBB7_1179:
	s_mov_b32 s9, 0
.LBB7_1180:
	s_and_b32 vcc_lo, exec_lo, s9
	s_cbranch_vccz .LBB7_1184
; %bb.1181:
	s_cmp_eq_u32 s4, 29
	s_cbranch_scc0 .LBB7_1183
; %bb.1182:
	global_load_dwordx2 v[5:6], v[2:3], off
	s_mov_b32 s6, 0
	s_mov_b32 s8, -1
	s_mov_b32 s9, 0
	s_waitcnt vmcnt(0)
	v_cvt_f64_u32_e32 v[6:7], v6
	v_cvt_f64_u32_e32 v[8:9], v5
	v_ldexp_f64 v[6:7], v[6:7], 32
	v_add_f64 v[44:45], v[6:7], v[8:9]
	s_branch .LBB7_1185
.LBB7_1183:
	s_mov_b32 s6, -1
                                        ; implicit-def: $vgpr44_vgpr45
.LBB7_1184:
	s_mov_b32 s9, 0
.LBB7_1185:
	s_and_b32 vcc_lo, exec_lo, s9
	s_cbranch_vccz .LBB7_1205
; %bb.1186:
	s_cmp_lt_i32 s4, 27
	s_cbranch_scc1 .LBB7_1189
; %bb.1187:
	s_cmp_gt_i32 s4, 27
	s_cbranch_scc0 .LBB7_1190
; %bb.1188:
	global_load_dword v5, v[2:3], off
	s_mov_b32 s8, 0
	s_waitcnt vmcnt(0)
	v_cvt_f64_u32_e32 v[44:45], v5
	s_branch .LBB7_1191
.LBB7_1189:
	s_mov_b32 s8, -1
                                        ; implicit-def: $vgpr44_vgpr45
	s_branch .LBB7_1194
.LBB7_1190:
	s_mov_b32 s8, -1
                                        ; implicit-def: $vgpr44_vgpr45
.LBB7_1191:
	s_andn2_b32 vcc_lo, exec_lo, s8
	s_cbranch_vccnz .LBB7_1193
; %bb.1192:
	global_load_ushort v5, v[2:3], off
	s_waitcnt vmcnt(0)
	v_cvt_f64_u32_e32 v[44:45], v5
.LBB7_1193:
	s_mov_b32 s8, 0
.LBB7_1194:
	s_andn2_b32 vcc_lo, exec_lo, s8
	s_cbranch_vccnz .LBB7_1204
; %bb.1195:
	global_load_ubyte v5, v[2:3], off
	s_mov_b32 s8, 0
	s_mov_b32 s9, exec_lo
	s_waitcnt vmcnt(0)
	v_cmpx_lt_i16_e32 0x7f, v5
	s_xor_b32 s9, exec_lo, s9
	s_cbranch_execz .LBB7_1199
; %bb.1196:
	s_mov_b32 s8, -1
	s_mov_b32 s10, exec_lo
	v_cmpx_eq_u16_e32 0x80, v5
; %bb.1197:
	s_xor_b32 s8, exec_lo, -1
; %bb.1198:
	s_or_b32 exec_lo, exec_lo, s10
	s_and_b32 s8, s8, exec_lo
.LBB7_1199:
	s_or_saveexec_b32 s9, s9
	v_bfrev_b32_e32 v44, 4
	v_mov_b32_e32 v45, 0x7ff80000
	s_xor_b32 exec_lo, exec_lo, s9
; %bb.1200:
	v_cmp_ne_u16_e32 vcc_lo, 0, v5
	v_mov_b32_e32 v44, 0
	v_mov_b32_e32 v45, 0
	s_andn2_b32 s8, s8, exec_lo
	s_and_b32 s10, vcc_lo, exec_lo
	s_or_b32 s8, s8, s10
; %bb.1201:
	s_or_b32 exec_lo, exec_lo, s9
	s_and_saveexec_b32 s9, s8
	s_cbranch_execz .LBB7_1203
; %bb.1202:
	v_and_b32_e32 v6, 0xffff, v5
	v_lshlrev_b32_e32 v5, 24, v5
	v_and_b32_e32 v7, 7, v6
	v_bfe_u32 v10, v6, 3, 4
	v_and_b32_e32 v5, 0x80000000, v5
	v_ffbh_u32_e32 v8, v7
	v_cmp_eq_u32_e32 vcc_lo, 0, v10
	v_min_u32_e32 v8, 32, v8
	v_subrev_nc_u32_e32 v9, 28, v8
	v_sub_nc_u32_e32 v8, 29, v8
	v_lshlrev_b32_e32 v6, v9, v6
	v_cndmask_b32_e32 v8, v10, v8, vcc_lo
	v_and_b32_e32 v6, 7, v6
	v_cndmask_b32_e32 v6, v7, v6, vcc_lo
	v_lshl_add_u32 v7, v8, 23, 0x3b800000
	v_lshlrev_b32_e32 v6, 20, v6
	v_or3_b32 v5, v5, v7, v6
	v_cvt_f64_f32_e32 v[44:45], v5
.LBB7_1203:
	s_or_b32 exec_lo, exec_lo, s9
.LBB7_1204:
	s_mov_b32 s8, -1
.LBB7_1205:
	s_branch .LBB7_1236
.LBB7_1206:
	s_cmp_gt_i32 s4, 22
	s_cbranch_scc0 .LBB7_1218
; %bb.1207:
	s_cmp_lt_i32 s4, 24
	s_cbranch_scc1 .LBB7_1219
; %bb.1208:
	s_cmp_gt_i32 s4, 24
	s_cbranch_scc0 .LBB7_1220
; %bb.1209:
	global_load_ubyte v5, v[2:3], off
	s_mov_b32 s8, exec_lo
	s_waitcnt vmcnt(0)
	v_cmpx_lt_i16_e32 0x7f, v5
	s_xor_b32 s8, exec_lo, s8
	s_cbranch_execz .LBB7_1213
; %bb.1210:
	s_mov_b32 s7, -1
	s_mov_b32 s9, exec_lo
	v_cmpx_eq_u16_e32 0x80, v5
; %bb.1211:
	s_xor_b32 s7, exec_lo, -1
; %bb.1212:
	s_or_b32 exec_lo, exec_lo, s9
	s_and_b32 s7, s7, exec_lo
.LBB7_1213:
	s_or_saveexec_b32 s8, s8
	v_bfrev_b32_e32 v44, 4
	v_mov_b32_e32 v45, 0x7ff80000
	s_xor_b32 exec_lo, exec_lo, s8
; %bb.1214:
	v_cmp_ne_u16_e32 vcc_lo, 0, v5
	v_mov_b32_e32 v44, 0
	v_mov_b32_e32 v45, 0
	s_andn2_b32 s7, s7, exec_lo
	s_and_b32 s9, vcc_lo, exec_lo
	s_or_b32 s7, s7, s9
; %bb.1215:
	s_or_b32 exec_lo, exec_lo, s8
	s_and_saveexec_b32 s8, s7
	s_cbranch_execz .LBB7_1217
; %bb.1216:
	v_and_b32_e32 v6, 0xffff, v5
	v_lshlrev_b32_e32 v5, 24, v5
	v_and_b32_e32 v7, 3, v6
	v_bfe_u32 v10, v6, 2, 5
	v_and_b32_e32 v5, 0x80000000, v5
	v_ffbh_u32_e32 v8, v7
	v_cmp_eq_u32_e32 vcc_lo, 0, v10
	v_min_u32_e32 v8, 32, v8
	v_subrev_nc_u32_e32 v9, 29, v8
	v_sub_nc_u32_e32 v8, 30, v8
	v_lshlrev_b32_e32 v6, v9, v6
	v_cndmask_b32_e32 v8, v10, v8, vcc_lo
	v_and_b32_e32 v6, 3, v6
	v_cndmask_b32_e32 v6, v7, v6, vcc_lo
	v_lshl_add_u32 v7, v8, 23, 0x37800000
	v_lshlrev_b32_e32 v6, 21, v6
	v_or3_b32 v5, v5, v7, v6
	v_cvt_f64_f32_e32 v[44:45], v5
.LBB7_1217:
	s_or_b32 exec_lo, exec_lo, s8
	s_mov_b32 s7, 0
	s_branch .LBB7_1221
.LBB7_1218:
	s_mov_b32 s7, -1
                                        ; implicit-def: $vgpr44_vgpr45
	s_branch .LBB7_1227
.LBB7_1219:
	s_mov_b32 s7, -1
                                        ; implicit-def: $vgpr44_vgpr45
	s_branch .LBB7_1224
.LBB7_1220:
	s_mov_b32 s7, -1
                                        ; implicit-def: $vgpr44_vgpr45
.LBB7_1221:
	s_and_b32 vcc_lo, exec_lo, s7
	s_cbranch_vccz .LBB7_1223
; %bb.1222:
	global_load_ubyte v5, v[2:3], off
	s_waitcnt vmcnt(0)
	v_lshlrev_b32_e32 v5, 24, v5
	v_and_b32_e32 v6, 0x7f000000, v5
	v_ffbh_u32_e32 v7, v6
	v_add_nc_u32_e32 v9, 0x1000000, v6
	v_cmp_ne_u32_e32 vcc_lo, 0, v6
	v_min_u32_e32 v7, 32, v7
	v_sub_nc_u32_e64 v7, v7, 4 clamp
	v_lshlrev_b32_e32 v8, v7, v6
	v_lshlrev_b32_e32 v7, 23, v7
	v_lshrrev_b32_e32 v8, 4, v8
	v_sub_nc_u32_e32 v7, v8, v7
	v_ashrrev_i32_e32 v8, 8, v9
	v_add_nc_u32_e32 v7, 0x3c000000, v7
	v_and_or_b32 v7, 0x7f800000, v8, v7
	v_cndmask_b32_e32 v6, 0, v7, vcc_lo
	v_and_or_b32 v5, 0x80000000, v5, v6
	v_cvt_f64_f32_e32 v[44:45], v5
.LBB7_1223:
	s_mov_b32 s7, 0
.LBB7_1224:
	s_andn2_b32 vcc_lo, exec_lo, s7
	s_cbranch_vccnz .LBB7_1226
; %bb.1225:
	global_load_ubyte v5, v[2:3], off
	s_waitcnt vmcnt(0)
	v_lshlrev_b32_e32 v6, 25, v5
	v_lshlrev_b16 v5, 8, v5
	v_lshrrev_b32_e32 v7, 4, v6
	v_and_or_b32 v8, 0x7f00, v5, 0.5
	v_cmp_gt_u32_e32 vcc_lo, 0x8000000, v6
	v_bfe_i32 v5, v5, 0, 16
	v_or_b32_e32 v7, 0x70000000, v7
	v_add_f32_e32 v8, -0.5, v8
	v_mul_f32_e32 v7, 0x7800000, v7
	v_cndmask_b32_e32 v6, v7, v8, vcc_lo
	v_and_or_b32 v5, 0x80000000, v5, v6
	v_cvt_f64_f32_e32 v[44:45], v5
.LBB7_1226:
	s_mov_b32 s7, 0
	s_mov_b32 s8, -1
.LBB7_1227:
	s_andn2_b32 vcc_lo, exec_lo, s7
	s_mov_b32 s7, 0
	s_cbranch_vccnz .LBB7_1236
; %bb.1228:
	s_cmp_gt_i32 s4, 14
	s_cbranch_scc0 .LBB7_1231
; %bb.1229:
	s_cmp_eq_u32 s4, 15
	s_cbranch_scc0 .LBB7_1232
; %bb.1230:
	global_load_ushort v5, v[2:3], off
	s_mov_b32 s6, 0
	s_mov_b32 s8, -1
	s_waitcnt vmcnt(0)
	v_lshlrev_b32_e32 v5, 16, v5
	v_cvt_f64_f32_e32 v[44:45], v5
	s_branch .LBB7_1234
.LBB7_1231:
	s_mov_b32 s7, -1
	s_branch .LBB7_1233
.LBB7_1232:
	s_mov_b32 s6, -1
.LBB7_1233:
                                        ; implicit-def: $vgpr44_vgpr45
.LBB7_1234:
	s_and_b32 vcc_lo, exec_lo, s7
	s_mov_b32 s7, 0
	s_cbranch_vccz .LBB7_1236
; %bb.1235:
	s_cmp_lg_u32 s4, 11
	s_mov_b32 s7, -1
	s_cselect_b32 s6, -1, 0
.LBB7_1236:
	s_and_b32 vcc_lo, exec_lo, s6
	s_cbranch_vccnz .LBB7_1299
; %bb.1237:
	s_andn2_b32 vcc_lo, exec_lo, s7
	s_cbranch_vccnz .LBB7_1239
.LBB7_1238:
	global_load_ubyte v5, v[2:3], off
	v_mov_b32_e32 v44, 0
	s_mov_b32 s8, -1
	s_waitcnt vmcnt(0)
	v_cmp_ne_u16_e32 vcc_lo, 0, v5
	v_cndmask_b32_e64 v45, 0, 0x3ff00000, vcc_lo
.LBB7_1239:
	s_branch .LBB7_1165
.LBB7_1240:
	s_cmp_lt_i32 s4, 5
	s_cbranch_scc1 .LBB7_1245
; %bb.1241:
	s_cmp_lt_i32 s4, 8
	s_cbranch_scc1 .LBB7_1246
; %bb.1242:
	;; [unrolled: 3-line block ×3, first 2 shown]
	s_cmp_gt_i32 s4, 9
	s_cbranch_scc0 .LBB7_1248
; %bb.1244:
	global_load_dwordx2 v[44:45], v[2:3], off
	s_mov_b32 s6, 0
	s_branch .LBB7_1249
.LBB7_1245:
                                        ; implicit-def: $vgpr44_vgpr45
	s_branch .LBB7_1267
.LBB7_1246:
	s_mov_b32 s6, -1
                                        ; implicit-def: $vgpr44_vgpr45
	s_branch .LBB7_1255
.LBB7_1247:
	s_mov_b32 s6, -1
                                        ; implicit-def: $vgpr44_vgpr45
	s_branch .LBB7_1252
.LBB7_1248:
	s_mov_b32 s6, -1
                                        ; implicit-def: $vgpr44_vgpr45
.LBB7_1249:
	s_andn2_b32 vcc_lo, exec_lo, s6
	s_cbranch_vccnz .LBB7_1251
; %bb.1250:
	global_load_dword v5, v[2:3], off
	s_waitcnt vmcnt(0)
	v_cvt_f64_f32_e32 v[44:45], v5
.LBB7_1251:
	s_mov_b32 s6, 0
.LBB7_1252:
	s_andn2_b32 vcc_lo, exec_lo, s6
	s_cbranch_vccnz .LBB7_1254
; %bb.1253:
	global_load_dword v5, v[2:3], off
	s_waitcnt vmcnt(0)
	v_cvt_f32_f16_e32 v5, v5
	v_cvt_f64_f32_e32 v[44:45], v5
.LBB7_1254:
	s_mov_b32 s6, 0
.LBB7_1255:
	s_andn2_b32 vcc_lo, exec_lo, s6
	s_cbranch_vccnz .LBB7_1266
; %bb.1256:
	s_cmp_lt_i32 s4, 6
	s_cbranch_scc1 .LBB7_1259
; %bb.1257:
	s_cmp_gt_i32 s4, 6
	s_cbranch_scc0 .LBB7_1260
; %bb.1258:
	global_load_dwordx2 v[44:45], v[2:3], off
	s_mov_b32 s6, 0
	s_branch .LBB7_1261
.LBB7_1259:
	s_mov_b32 s6, -1
                                        ; implicit-def: $vgpr44_vgpr45
	s_branch .LBB7_1264
.LBB7_1260:
	s_mov_b32 s6, -1
                                        ; implicit-def: $vgpr44_vgpr45
.LBB7_1261:
	s_andn2_b32 vcc_lo, exec_lo, s6
	s_cbranch_vccnz .LBB7_1263
; %bb.1262:
	global_load_dword v5, v[2:3], off
	s_waitcnt vmcnt(0)
	v_cvt_f64_f32_e32 v[44:45], v5
.LBB7_1263:
	s_mov_b32 s6, 0
.LBB7_1264:
	s_andn2_b32 vcc_lo, exec_lo, s6
	s_cbranch_vccnz .LBB7_1266
; %bb.1265:
	global_load_ushort v5, v[2:3], off
	s_waitcnt vmcnt(0)
	v_cvt_f32_f16_e32 v5, v5
	v_cvt_f64_f32_e32 v[44:45], v5
.LBB7_1266:
	s_cbranch_execnz .LBB7_1286
.LBB7_1267:
	s_cmp_lt_i32 s4, 2
	s_cbranch_scc1 .LBB7_1271
; %bb.1268:
	s_cmp_lt_i32 s4, 3
	s_cbranch_scc1 .LBB7_1272
; %bb.1269:
	s_cmp_gt_i32 s4, 3
	s_cbranch_scc0 .LBB7_1273
; %bb.1270:
	global_load_dwordx2 v[5:6], v[2:3], off
	s_mov_b32 s6, 0
	s_waitcnt vmcnt(0)
	v_cvt_f64_i32_e32 v[6:7], v6
	v_cvt_f64_u32_e32 v[8:9], v5
	v_ldexp_f64 v[6:7], v[6:7], 32
	v_add_f64 v[44:45], v[6:7], v[8:9]
	s_branch .LBB7_1274
.LBB7_1271:
	s_mov_b32 s6, -1
                                        ; implicit-def: $vgpr44_vgpr45
	s_branch .LBB7_1280
.LBB7_1272:
	s_mov_b32 s6, -1
                                        ; implicit-def: $vgpr44_vgpr45
	s_branch .LBB7_1277
.LBB7_1273:
	s_mov_b32 s6, -1
                                        ; implicit-def: $vgpr44_vgpr45
.LBB7_1274:
	s_andn2_b32 vcc_lo, exec_lo, s6
	s_cbranch_vccnz .LBB7_1276
; %bb.1275:
	global_load_dword v5, v[2:3], off
	s_waitcnt vmcnt(0)
	v_cvt_f64_i32_e32 v[44:45], v5
.LBB7_1276:
	s_mov_b32 s6, 0
.LBB7_1277:
	s_andn2_b32 vcc_lo, exec_lo, s6
	s_cbranch_vccnz .LBB7_1279
; %bb.1278:
	global_load_sshort v5, v[2:3], off
	s_waitcnt vmcnt(0)
	v_cvt_f64_i32_e32 v[44:45], v5
.LBB7_1279:
	s_mov_b32 s6, 0
.LBB7_1280:
	s_andn2_b32 vcc_lo, exec_lo, s6
	s_cbranch_vccnz .LBB7_1286
; %bb.1281:
	s_cmp_gt_i32 s4, 0
	s_mov_b32 s6, 0
	s_cbranch_scc0 .LBB7_1283
; %bb.1282:
	global_load_sbyte v5, v[2:3], off
	s_waitcnt vmcnt(0)
	v_cvt_f64_i32_e32 v[44:45], v5
	s_branch .LBB7_1284
.LBB7_1283:
	s_mov_b32 s6, -1
                                        ; implicit-def: $vgpr44_vgpr45
.LBB7_1284:
	s_andn2_b32 vcc_lo, exec_lo, s6
	s_cbranch_vccnz .LBB7_1286
; %bb.1285:
	global_load_ubyte v2, v[2:3], off
	s_waitcnt vmcnt(0)
	v_cvt_f64_u32_e32 v[44:45], v2
.LBB7_1286:
.LBB7_1287:
	v_add_nc_u32_e32 v4, s5, v4
	s_cmp_lt_i32 s4, 11
	v_ashrrev_i32_e32 v3, 31, v4
	v_add_co_u32 v2, vcc_lo, s38, v4
	v_add_co_ci_u32_e64 v3, null, s39, v3, vcc_lo
	s_cbranch_scc1 .LBB7_1294
; %bb.1288:
	s_cmp_gt_i32 s4, 25
	s_mov_b32 s7, 0
	s_cbranch_scc0 .LBB7_1296
; %bb.1289:
	s_cmp_gt_i32 s4, 28
	s_cbranch_scc0 .LBB7_1297
; %bb.1290:
	s_cmp_gt_i32 s4, 43
	;; [unrolled: 3-line block ×3, first 2 shown]
	s_cbranch_scc0 .LBB7_1300
; %bb.1292:
	s_cmp_eq_u32 s4, 46
	s_mov_b32 s9, 0
	s_cbranch_scc0 .LBB7_1301
; %bb.1293:
	global_load_dword v5, v[2:3], off
	s_mov_b32 s6, 0
	s_mov_b32 s8, -1
	s_waitcnt vmcnt(0)
	v_lshlrev_b32_e32 v5, 16, v5
	v_cvt_f64_f32_e32 v[42:43], v5
	s_branch .LBB7_1303
.LBB7_1294:
	s_mov_b32 s8, 0
                                        ; implicit-def: $vgpr42_vgpr43
	s_cbranch_execnz .LBB7_1369
.LBB7_1295:
	s_andn2_b32 vcc_lo, exec_lo, s8
	s_cbranch_vccnz .LBB7_1981
	s_branch .LBB7_1417
.LBB7_1296:
	s_mov_b32 s9, -1
	s_mov_b32 s8, 0
	s_mov_b32 s6, 0
                                        ; implicit-def: $vgpr42_vgpr43
	s_branch .LBB7_1334
.LBB7_1297:
	s_mov_b32 s9, -1
	s_mov_b32 s8, 0
	s_mov_b32 s6, 0
                                        ; implicit-def: $vgpr42_vgpr43
	s_branch .LBB7_1313
.LBB7_1298:
	s_mov_b32 s9, -1
	s_mov_b32 s8, 0
	s_mov_b32 s6, 0
                                        ; implicit-def: $vgpr42_vgpr43
	s_branch .LBB7_1308
.LBB7_1299:
	s_or_b32 s29, s29, exec_lo
	s_trap 2
	s_cbranch_execz .LBB7_1238
	s_branch .LBB7_1239
.LBB7_1300:
	s_mov_b32 s9, -1
	s_mov_b32 s8, 0
	s_mov_b32 s6, 0
	s_branch .LBB7_1302
.LBB7_1301:
	s_mov_b32 s6, -1
	s_mov_b32 s8, 0
.LBB7_1302:
                                        ; implicit-def: $vgpr42_vgpr43
.LBB7_1303:
	s_and_b32 vcc_lo, exec_lo, s9
	s_cbranch_vccz .LBB7_1307
; %bb.1304:
	s_cmp_eq_u32 s4, 44
	s_cbranch_scc0 .LBB7_1306
; %bb.1305:
	global_load_ubyte v7, v[2:3], off
	s_mov_b32 s6, 0
	s_mov_b32 s8, -1
	s_waitcnt vmcnt(0)
	v_lshlrev_b32_e32 v5, 23, v7
	v_cmp_ne_u32_e32 vcc_lo, 0xff, v7
	v_cvt_f64_f32_e32 v[5:6], v5
	v_cndmask_b32_e32 v5, 0x20000000, v5, vcc_lo
	v_cndmask_b32_e32 v6, 0x7ff80000, v6, vcc_lo
	v_cmp_ne_u32_e32 vcc_lo, 0, v7
	v_cndmask_b32_e32 v43, 0x38000000, v6, vcc_lo
	v_cndmask_b32_e32 v42, 0, v5, vcc_lo
	s_branch .LBB7_1307
.LBB7_1306:
	s_mov_b32 s6, -1
                                        ; implicit-def: $vgpr42_vgpr43
.LBB7_1307:
	s_mov_b32 s9, 0
.LBB7_1308:
	s_and_b32 vcc_lo, exec_lo, s9
	s_cbranch_vccz .LBB7_1312
; %bb.1309:
	s_cmp_eq_u32 s4, 29
	s_cbranch_scc0 .LBB7_1311
; %bb.1310:
	global_load_dwordx2 v[5:6], v[2:3], off
	s_mov_b32 s6, 0
	s_mov_b32 s8, -1
	s_mov_b32 s9, 0
	s_waitcnt vmcnt(0)
	v_cvt_f64_u32_e32 v[6:7], v6
	v_cvt_f64_u32_e32 v[8:9], v5
	v_ldexp_f64 v[6:7], v[6:7], 32
	v_add_f64 v[42:43], v[6:7], v[8:9]
	s_branch .LBB7_1313
.LBB7_1311:
	s_mov_b32 s6, -1
                                        ; implicit-def: $vgpr42_vgpr43
.LBB7_1312:
	s_mov_b32 s9, 0
.LBB7_1313:
	s_and_b32 vcc_lo, exec_lo, s9
	s_cbranch_vccz .LBB7_1333
; %bb.1314:
	s_cmp_lt_i32 s4, 27
	s_cbranch_scc1 .LBB7_1317
; %bb.1315:
	s_cmp_gt_i32 s4, 27
	s_cbranch_scc0 .LBB7_1318
; %bb.1316:
	global_load_dword v5, v[2:3], off
	s_mov_b32 s8, 0
	s_waitcnt vmcnt(0)
	v_cvt_f64_u32_e32 v[42:43], v5
	s_branch .LBB7_1319
.LBB7_1317:
	s_mov_b32 s8, -1
                                        ; implicit-def: $vgpr42_vgpr43
	s_branch .LBB7_1322
.LBB7_1318:
	s_mov_b32 s8, -1
                                        ; implicit-def: $vgpr42_vgpr43
.LBB7_1319:
	s_andn2_b32 vcc_lo, exec_lo, s8
	s_cbranch_vccnz .LBB7_1321
; %bb.1320:
	global_load_ushort v5, v[2:3], off
	s_waitcnt vmcnt(0)
	v_cvt_f64_u32_e32 v[42:43], v5
.LBB7_1321:
	s_mov_b32 s8, 0
.LBB7_1322:
	s_andn2_b32 vcc_lo, exec_lo, s8
	s_cbranch_vccnz .LBB7_1332
; %bb.1323:
	global_load_ubyte v5, v[2:3], off
	s_mov_b32 s8, 0
	s_mov_b32 s9, exec_lo
	s_waitcnt vmcnt(0)
	v_cmpx_lt_i16_e32 0x7f, v5
	s_xor_b32 s9, exec_lo, s9
	s_cbranch_execz .LBB7_1327
; %bb.1324:
	s_mov_b32 s8, -1
	s_mov_b32 s10, exec_lo
	v_cmpx_eq_u16_e32 0x80, v5
; %bb.1325:
	s_xor_b32 s8, exec_lo, -1
; %bb.1326:
	s_or_b32 exec_lo, exec_lo, s10
	s_and_b32 s8, s8, exec_lo
.LBB7_1327:
	s_or_saveexec_b32 s9, s9
	v_bfrev_b32_e32 v42, 4
	v_mov_b32_e32 v43, 0x7ff80000
	s_xor_b32 exec_lo, exec_lo, s9
; %bb.1328:
	v_cmp_ne_u16_e32 vcc_lo, 0, v5
	v_mov_b32_e32 v42, 0
	v_mov_b32_e32 v43, 0
	s_andn2_b32 s8, s8, exec_lo
	s_and_b32 s10, vcc_lo, exec_lo
	s_or_b32 s8, s8, s10
; %bb.1329:
	s_or_b32 exec_lo, exec_lo, s9
	s_and_saveexec_b32 s9, s8
	s_cbranch_execz .LBB7_1331
; %bb.1330:
	v_and_b32_e32 v6, 0xffff, v5
	v_lshlrev_b32_e32 v5, 24, v5
	v_and_b32_e32 v7, 7, v6
	v_bfe_u32 v10, v6, 3, 4
	v_and_b32_e32 v5, 0x80000000, v5
	v_ffbh_u32_e32 v8, v7
	v_cmp_eq_u32_e32 vcc_lo, 0, v10
	v_min_u32_e32 v8, 32, v8
	v_subrev_nc_u32_e32 v9, 28, v8
	v_sub_nc_u32_e32 v8, 29, v8
	v_lshlrev_b32_e32 v6, v9, v6
	v_cndmask_b32_e32 v8, v10, v8, vcc_lo
	v_and_b32_e32 v6, 7, v6
	v_cndmask_b32_e32 v6, v7, v6, vcc_lo
	v_lshl_add_u32 v7, v8, 23, 0x3b800000
	v_lshlrev_b32_e32 v6, 20, v6
	v_or3_b32 v5, v5, v7, v6
	v_cvt_f64_f32_e32 v[42:43], v5
.LBB7_1331:
	s_or_b32 exec_lo, exec_lo, s9
.LBB7_1332:
	s_mov_b32 s8, -1
.LBB7_1333:
	s_mov_b32 s9, 0
.LBB7_1334:
	s_and_b32 vcc_lo, exec_lo, s9
	s_cbranch_vccz .LBB7_1365
; %bb.1335:
	s_cmp_gt_i32 s4, 22
	s_cbranch_scc0 .LBB7_1347
; %bb.1336:
	s_cmp_lt_i32 s4, 24
	s_cbranch_scc1 .LBB7_1348
; %bb.1337:
	s_cmp_gt_i32 s4, 24
	s_cbranch_scc0 .LBB7_1349
; %bb.1338:
	global_load_ubyte v5, v[2:3], off
	s_mov_b32 s8, exec_lo
	s_waitcnt vmcnt(0)
	v_cmpx_lt_i16_e32 0x7f, v5
	s_xor_b32 s8, exec_lo, s8
	s_cbranch_execz .LBB7_1342
; %bb.1339:
	s_mov_b32 s7, -1
	s_mov_b32 s9, exec_lo
	v_cmpx_eq_u16_e32 0x80, v5
; %bb.1340:
	s_xor_b32 s7, exec_lo, -1
; %bb.1341:
	s_or_b32 exec_lo, exec_lo, s9
	s_and_b32 s7, s7, exec_lo
.LBB7_1342:
	s_or_saveexec_b32 s8, s8
	v_bfrev_b32_e32 v42, 4
	v_mov_b32_e32 v43, 0x7ff80000
	s_xor_b32 exec_lo, exec_lo, s8
; %bb.1343:
	v_cmp_ne_u16_e32 vcc_lo, 0, v5
	v_mov_b32_e32 v42, 0
	v_mov_b32_e32 v43, 0
	s_andn2_b32 s7, s7, exec_lo
	s_and_b32 s9, vcc_lo, exec_lo
	s_or_b32 s7, s7, s9
; %bb.1344:
	s_or_b32 exec_lo, exec_lo, s8
	s_and_saveexec_b32 s8, s7
	s_cbranch_execz .LBB7_1346
; %bb.1345:
	v_and_b32_e32 v6, 0xffff, v5
	v_lshlrev_b32_e32 v5, 24, v5
	v_and_b32_e32 v7, 3, v6
	v_bfe_u32 v10, v6, 2, 5
	v_and_b32_e32 v5, 0x80000000, v5
	v_ffbh_u32_e32 v8, v7
	v_cmp_eq_u32_e32 vcc_lo, 0, v10
	v_min_u32_e32 v8, 32, v8
	v_subrev_nc_u32_e32 v9, 29, v8
	v_sub_nc_u32_e32 v8, 30, v8
	v_lshlrev_b32_e32 v6, v9, v6
	v_cndmask_b32_e32 v8, v10, v8, vcc_lo
	v_and_b32_e32 v6, 3, v6
	v_cndmask_b32_e32 v6, v7, v6, vcc_lo
	v_lshl_add_u32 v7, v8, 23, 0x37800000
	v_lshlrev_b32_e32 v6, 21, v6
	v_or3_b32 v5, v5, v7, v6
	v_cvt_f64_f32_e32 v[42:43], v5
.LBB7_1346:
	s_or_b32 exec_lo, exec_lo, s8
	s_mov_b32 s7, 0
	s_branch .LBB7_1350
.LBB7_1347:
	s_mov_b32 s7, -1
                                        ; implicit-def: $vgpr42_vgpr43
	s_branch .LBB7_1356
.LBB7_1348:
	s_mov_b32 s7, -1
                                        ; implicit-def: $vgpr42_vgpr43
	s_branch .LBB7_1353
.LBB7_1349:
	s_mov_b32 s7, -1
                                        ; implicit-def: $vgpr42_vgpr43
.LBB7_1350:
	s_and_b32 vcc_lo, exec_lo, s7
	s_cbranch_vccz .LBB7_1352
; %bb.1351:
	global_load_ubyte v5, v[2:3], off
	s_waitcnt vmcnt(0)
	v_lshlrev_b32_e32 v5, 24, v5
	v_and_b32_e32 v6, 0x7f000000, v5
	v_ffbh_u32_e32 v7, v6
	v_add_nc_u32_e32 v9, 0x1000000, v6
	v_cmp_ne_u32_e32 vcc_lo, 0, v6
	v_min_u32_e32 v7, 32, v7
	v_sub_nc_u32_e64 v7, v7, 4 clamp
	v_lshlrev_b32_e32 v8, v7, v6
	v_lshlrev_b32_e32 v7, 23, v7
	v_lshrrev_b32_e32 v8, 4, v8
	v_sub_nc_u32_e32 v7, v8, v7
	v_ashrrev_i32_e32 v8, 8, v9
	v_add_nc_u32_e32 v7, 0x3c000000, v7
	v_and_or_b32 v7, 0x7f800000, v8, v7
	v_cndmask_b32_e32 v6, 0, v7, vcc_lo
	v_and_or_b32 v5, 0x80000000, v5, v6
	v_cvt_f64_f32_e32 v[42:43], v5
.LBB7_1352:
	s_mov_b32 s7, 0
.LBB7_1353:
	s_andn2_b32 vcc_lo, exec_lo, s7
	s_cbranch_vccnz .LBB7_1355
; %bb.1354:
	global_load_ubyte v5, v[2:3], off
	s_waitcnt vmcnt(0)
	v_lshlrev_b32_e32 v6, 25, v5
	v_lshlrev_b16 v5, 8, v5
	v_lshrrev_b32_e32 v7, 4, v6
	v_and_or_b32 v8, 0x7f00, v5, 0.5
	v_cmp_gt_u32_e32 vcc_lo, 0x8000000, v6
	v_bfe_i32 v5, v5, 0, 16
	v_or_b32_e32 v7, 0x70000000, v7
	v_add_f32_e32 v8, -0.5, v8
	v_mul_f32_e32 v7, 0x7800000, v7
	v_cndmask_b32_e32 v6, v7, v8, vcc_lo
	v_and_or_b32 v5, 0x80000000, v5, v6
	v_cvt_f64_f32_e32 v[42:43], v5
.LBB7_1355:
	s_mov_b32 s7, 0
	s_mov_b32 s8, -1
.LBB7_1356:
	s_andn2_b32 vcc_lo, exec_lo, s7
	s_mov_b32 s7, 0
	s_cbranch_vccnz .LBB7_1365
; %bb.1357:
	s_cmp_gt_i32 s4, 14
	s_cbranch_scc0 .LBB7_1360
; %bb.1358:
	s_cmp_eq_u32 s4, 15
	s_cbranch_scc0 .LBB7_1361
; %bb.1359:
	global_load_ushort v5, v[2:3], off
	s_mov_b32 s6, 0
	s_mov_b32 s8, -1
	s_waitcnt vmcnt(0)
	v_lshlrev_b32_e32 v5, 16, v5
	v_cvt_f64_f32_e32 v[42:43], v5
	s_branch .LBB7_1363
.LBB7_1360:
	s_mov_b32 s7, -1
	s_branch .LBB7_1362
.LBB7_1361:
	s_mov_b32 s6, -1
.LBB7_1362:
                                        ; implicit-def: $vgpr42_vgpr43
.LBB7_1363:
	s_and_b32 vcc_lo, exec_lo, s7
	s_mov_b32 s7, 0
	s_cbranch_vccz .LBB7_1365
; %bb.1364:
	s_cmp_lg_u32 s4, 11
	s_mov_b32 s7, -1
	s_cselect_b32 s6, -1, 0
.LBB7_1365:
	s_and_b32 vcc_lo, exec_lo, s6
	s_cbranch_vccnz .LBB7_1428
; %bb.1366:
	s_andn2_b32 vcc_lo, exec_lo, s7
	s_cbranch_vccnz .LBB7_1368
.LBB7_1367:
	global_load_ubyte v5, v[2:3], off
	v_mov_b32_e32 v42, 0
	s_mov_b32 s8, -1
	s_waitcnt vmcnt(0)
	v_cmp_ne_u16_e32 vcc_lo, 0, v5
	v_cndmask_b32_e64 v43, 0, 0x3ff00000, vcc_lo
.LBB7_1368:
	s_branch .LBB7_1295
.LBB7_1369:
	s_cmp_lt_i32 s4, 5
	s_cbranch_scc1 .LBB7_1374
; %bb.1370:
	s_cmp_lt_i32 s4, 8
	s_cbranch_scc1 .LBB7_1375
; %bb.1371:
	;; [unrolled: 3-line block ×3, first 2 shown]
	s_cmp_gt_i32 s4, 9
	s_cbranch_scc0 .LBB7_1377
; %bb.1373:
	global_load_dwordx2 v[42:43], v[2:3], off
	s_mov_b32 s6, 0
	s_branch .LBB7_1378
.LBB7_1374:
	s_mov_b32 s6, -1
                                        ; implicit-def: $vgpr42_vgpr43
	s_branch .LBB7_1396
.LBB7_1375:
	s_mov_b32 s6, -1
                                        ; implicit-def: $vgpr42_vgpr43
	s_branch .LBB7_1384
.LBB7_1376:
	s_mov_b32 s6, -1
                                        ; implicit-def: $vgpr42_vgpr43
	s_branch .LBB7_1381
.LBB7_1377:
	s_mov_b32 s6, -1
                                        ; implicit-def: $vgpr42_vgpr43
.LBB7_1378:
	s_andn2_b32 vcc_lo, exec_lo, s6
	s_cbranch_vccnz .LBB7_1380
; %bb.1379:
	global_load_dword v5, v[2:3], off
	s_waitcnt vmcnt(0)
	v_cvt_f64_f32_e32 v[42:43], v5
.LBB7_1380:
	s_mov_b32 s6, 0
.LBB7_1381:
	s_andn2_b32 vcc_lo, exec_lo, s6
	s_cbranch_vccnz .LBB7_1383
; %bb.1382:
	global_load_dword v5, v[2:3], off
	s_waitcnt vmcnt(0)
	v_cvt_f32_f16_e32 v5, v5
	v_cvt_f64_f32_e32 v[42:43], v5
.LBB7_1383:
	s_mov_b32 s6, 0
.LBB7_1384:
	s_andn2_b32 vcc_lo, exec_lo, s6
	s_cbranch_vccnz .LBB7_1395
; %bb.1385:
	s_cmp_lt_i32 s4, 6
	s_cbranch_scc1 .LBB7_1388
; %bb.1386:
	s_cmp_gt_i32 s4, 6
	s_cbranch_scc0 .LBB7_1389
; %bb.1387:
	global_load_dwordx2 v[42:43], v[2:3], off
	s_mov_b32 s6, 0
	s_branch .LBB7_1390
.LBB7_1388:
	s_mov_b32 s6, -1
                                        ; implicit-def: $vgpr42_vgpr43
	s_branch .LBB7_1393
.LBB7_1389:
	s_mov_b32 s6, -1
                                        ; implicit-def: $vgpr42_vgpr43
.LBB7_1390:
	s_andn2_b32 vcc_lo, exec_lo, s6
	s_cbranch_vccnz .LBB7_1392
; %bb.1391:
	global_load_dword v5, v[2:3], off
	s_waitcnt vmcnt(0)
	v_cvt_f64_f32_e32 v[42:43], v5
.LBB7_1392:
	s_mov_b32 s6, 0
.LBB7_1393:
	s_andn2_b32 vcc_lo, exec_lo, s6
	s_cbranch_vccnz .LBB7_1395
; %bb.1394:
	global_load_ushort v5, v[2:3], off
	s_waitcnt vmcnt(0)
	v_cvt_f32_f16_e32 v5, v5
	v_cvt_f64_f32_e32 v[42:43], v5
.LBB7_1395:
	s_mov_b32 s6, 0
.LBB7_1396:
	s_andn2_b32 vcc_lo, exec_lo, s6
	s_cbranch_vccnz .LBB7_1416
; %bb.1397:
	s_cmp_lt_i32 s4, 2
	s_cbranch_scc1 .LBB7_1401
; %bb.1398:
	s_cmp_lt_i32 s4, 3
	s_cbranch_scc1 .LBB7_1402
; %bb.1399:
	s_cmp_gt_i32 s4, 3
	s_cbranch_scc0 .LBB7_1403
; %bb.1400:
	global_load_dwordx2 v[5:6], v[2:3], off
	s_mov_b32 s6, 0
	s_waitcnt vmcnt(0)
	v_cvt_f64_i32_e32 v[6:7], v6
	v_cvt_f64_u32_e32 v[8:9], v5
	v_ldexp_f64 v[6:7], v[6:7], 32
	v_add_f64 v[42:43], v[6:7], v[8:9]
	s_branch .LBB7_1404
.LBB7_1401:
	s_mov_b32 s6, -1
                                        ; implicit-def: $vgpr42_vgpr43
	s_branch .LBB7_1410
.LBB7_1402:
	s_mov_b32 s6, -1
                                        ; implicit-def: $vgpr42_vgpr43
	s_branch .LBB7_1407
.LBB7_1403:
	s_mov_b32 s6, -1
                                        ; implicit-def: $vgpr42_vgpr43
.LBB7_1404:
	s_andn2_b32 vcc_lo, exec_lo, s6
	s_cbranch_vccnz .LBB7_1406
; %bb.1405:
	global_load_dword v5, v[2:3], off
	s_waitcnt vmcnt(0)
	v_cvt_f64_i32_e32 v[42:43], v5
.LBB7_1406:
	s_mov_b32 s6, 0
.LBB7_1407:
	s_andn2_b32 vcc_lo, exec_lo, s6
	s_cbranch_vccnz .LBB7_1409
; %bb.1408:
	global_load_sshort v5, v[2:3], off
	s_waitcnt vmcnt(0)
	v_cvt_f64_i32_e32 v[42:43], v5
.LBB7_1409:
	s_mov_b32 s6, 0
.LBB7_1410:
	s_andn2_b32 vcc_lo, exec_lo, s6
	s_cbranch_vccnz .LBB7_1416
; %bb.1411:
	s_cmp_gt_i32 s4, 0
	s_mov_b32 s6, 0
	s_cbranch_scc0 .LBB7_1413
; %bb.1412:
	global_load_sbyte v5, v[2:3], off
	s_waitcnt vmcnt(0)
	v_cvt_f64_i32_e32 v[42:43], v5
	s_branch .LBB7_1414
.LBB7_1413:
	s_mov_b32 s6, -1
                                        ; implicit-def: $vgpr42_vgpr43
.LBB7_1414:
	s_andn2_b32 vcc_lo, exec_lo, s6
	s_cbranch_vccnz .LBB7_1416
; %bb.1415:
	global_load_ubyte v2, v[2:3], off
	s_waitcnt vmcnt(0)
	v_cvt_f64_u32_e32 v[42:43], v2
.LBB7_1416:
.LBB7_1417:
	v_add_nc_u32_e32 v2, s5, v4
	s_cmp_lt_i32 s4, 11
	v_ashrrev_i32_e32 v3, 31, v2
	v_add_co_u32 v2, vcc_lo, s38, v2
	v_add_co_ci_u32_e64 v3, null, s39, v3, vcc_lo
	s_cbranch_scc1 .LBB7_1424
; %bb.1418:
	s_cmp_gt_i32 s4, 25
	s_mov_b32 s6, 0
	s_cbranch_scc0 .LBB7_1425
; %bb.1419:
	s_cmp_gt_i32 s4, 28
	s_cbranch_scc0 .LBB7_1426
; %bb.1420:
	s_cmp_gt_i32 s4, 43
	;; [unrolled: 3-line block ×3, first 2 shown]
	s_cbranch_scc0 .LBB7_1429
; %bb.1422:
	s_cmp_eq_u32 s4, 46
	s_mov_b32 s8, 0
	s_cbranch_scc0 .LBB7_1430
; %bb.1423:
	global_load_dword v4, v[2:3], off
	s_mov_b32 s5, 0
	s_mov_b32 s7, -1
	s_waitcnt vmcnt(0)
	v_lshlrev_b32_e32 v4, 16, v4
	v_cvt_f64_f32_e32 v[40:41], v4
	s_branch .LBB7_1432
.LBB7_1424:
	s_mov_b32 s5, -1
	s_mov_b32 s7, 0
                                        ; implicit-def: $vgpr40_vgpr41
	s_branch .LBB7_1498
.LBB7_1425:
	s_mov_b32 s8, -1
	s_mov_b32 s7, 0
	s_mov_b32 s5, 0
                                        ; implicit-def: $vgpr40_vgpr41
	s_branch .LBB7_1463
.LBB7_1426:
	s_mov_b32 s8, -1
	s_mov_b32 s7, 0
	s_mov_b32 s5, 0
                                        ; implicit-def: $vgpr40_vgpr41
	s_branch .LBB7_1442
.LBB7_1427:
	s_mov_b32 s8, -1
	s_mov_b32 s7, 0
	s_mov_b32 s5, 0
                                        ; implicit-def: $vgpr40_vgpr41
	s_branch .LBB7_1437
.LBB7_1428:
	s_or_b32 s29, s29, exec_lo
	s_trap 2
	s_cbranch_execz .LBB7_1367
	s_branch .LBB7_1368
.LBB7_1429:
	s_mov_b32 s8, -1
	s_mov_b32 s7, 0
	s_mov_b32 s5, 0
	s_branch .LBB7_1431
.LBB7_1430:
	s_mov_b32 s5, -1
	s_mov_b32 s7, 0
.LBB7_1431:
                                        ; implicit-def: $vgpr40_vgpr41
.LBB7_1432:
	s_and_b32 vcc_lo, exec_lo, s8
	s_cbranch_vccz .LBB7_1436
; %bb.1433:
	s_cmp_eq_u32 s4, 44
	s_cbranch_scc0 .LBB7_1435
; %bb.1434:
	global_load_ubyte v6, v[2:3], off
	s_mov_b32 s5, 0
	s_mov_b32 s7, -1
	s_waitcnt vmcnt(0)
	v_lshlrev_b32_e32 v4, 23, v6
	v_cmp_ne_u32_e32 vcc_lo, 0xff, v6
	v_cvt_f64_f32_e32 v[4:5], v4
	v_cndmask_b32_e32 v4, 0x20000000, v4, vcc_lo
	v_cndmask_b32_e32 v5, 0x7ff80000, v5, vcc_lo
	v_cmp_ne_u32_e32 vcc_lo, 0, v6
	v_cndmask_b32_e32 v41, 0x38000000, v5, vcc_lo
	v_cndmask_b32_e32 v40, 0, v4, vcc_lo
	s_branch .LBB7_1436
.LBB7_1435:
	s_mov_b32 s5, -1
                                        ; implicit-def: $vgpr40_vgpr41
.LBB7_1436:
	s_mov_b32 s8, 0
.LBB7_1437:
	s_and_b32 vcc_lo, exec_lo, s8
	s_cbranch_vccz .LBB7_1441
; %bb.1438:
	s_cmp_eq_u32 s4, 29
	s_cbranch_scc0 .LBB7_1440
; %bb.1439:
	global_load_dwordx2 v[4:5], v[2:3], off
	s_mov_b32 s5, 0
	s_mov_b32 s7, -1
	s_mov_b32 s8, 0
	s_waitcnt vmcnt(0)
	v_cvt_f64_u32_e32 v[5:6], v5
	v_cvt_f64_u32_e32 v[7:8], v4
	v_ldexp_f64 v[5:6], v[5:6], 32
	v_add_f64 v[40:41], v[5:6], v[7:8]
	s_branch .LBB7_1442
.LBB7_1440:
	s_mov_b32 s5, -1
                                        ; implicit-def: $vgpr40_vgpr41
.LBB7_1441:
	s_mov_b32 s8, 0
.LBB7_1442:
	s_and_b32 vcc_lo, exec_lo, s8
	s_cbranch_vccz .LBB7_1462
; %bb.1443:
	s_cmp_lt_i32 s4, 27
	s_cbranch_scc1 .LBB7_1446
; %bb.1444:
	s_cmp_gt_i32 s4, 27
	s_cbranch_scc0 .LBB7_1447
; %bb.1445:
	global_load_dword v4, v[2:3], off
	s_mov_b32 s7, 0
	s_waitcnt vmcnt(0)
	v_cvt_f64_u32_e32 v[40:41], v4
	s_branch .LBB7_1448
.LBB7_1446:
	s_mov_b32 s7, -1
                                        ; implicit-def: $vgpr40_vgpr41
	s_branch .LBB7_1451
.LBB7_1447:
	s_mov_b32 s7, -1
                                        ; implicit-def: $vgpr40_vgpr41
.LBB7_1448:
	s_andn2_b32 vcc_lo, exec_lo, s7
	s_cbranch_vccnz .LBB7_1450
; %bb.1449:
	global_load_ushort v4, v[2:3], off
	s_waitcnt vmcnt(0)
	v_cvt_f64_u32_e32 v[40:41], v4
.LBB7_1450:
	s_mov_b32 s7, 0
.LBB7_1451:
	s_andn2_b32 vcc_lo, exec_lo, s7
	s_cbranch_vccnz .LBB7_1461
; %bb.1452:
	global_load_ubyte v4, v[2:3], off
	s_mov_b32 s7, 0
	s_mov_b32 s8, exec_lo
	s_waitcnt vmcnt(0)
	v_cmpx_lt_i16_e32 0x7f, v4
	s_xor_b32 s8, exec_lo, s8
	s_cbranch_execz .LBB7_1456
; %bb.1453:
	s_mov_b32 s7, -1
	s_mov_b32 s9, exec_lo
	v_cmpx_eq_u16_e32 0x80, v4
; %bb.1454:
	s_xor_b32 s7, exec_lo, -1
; %bb.1455:
	s_or_b32 exec_lo, exec_lo, s9
	s_and_b32 s7, s7, exec_lo
.LBB7_1456:
	s_or_saveexec_b32 s8, s8
	v_bfrev_b32_e32 v40, 4
	v_mov_b32_e32 v41, 0x7ff80000
	s_xor_b32 exec_lo, exec_lo, s8
; %bb.1457:
	v_cmp_ne_u16_e32 vcc_lo, 0, v4
	v_mov_b32_e32 v40, 0
	v_mov_b32_e32 v41, 0
	s_andn2_b32 s7, s7, exec_lo
	s_and_b32 s9, vcc_lo, exec_lo
	s_or_b32 s7, s7, s9
; %bb.1458:
	s_or_b32 exec_lo, exec_lo, s8
	s_and_saveexec_b32 s8, s7
	s_cbranch_execz .LBB7_1460
; %bb.1459:
	v_and_b32_e32 v5, 0xffff, v4
	v_lshlrev_b32_e32 v4, 24, v4
	v_and_b32_e32 v6, 7, v5
	v_bfe_u32 v9, v5, 3, 4
	v_and_b32_e32 v4, 0x80000000, v4
	v_ffbh_u32_e32 v7, v6
	v_cmp_eq_u32_e32 vcc_lo, 0, v9
	v_min_u32_e32 v7, 32, v7
	v_subrev_nc_u32_e32 v8, 28, v7
	v_sub_nc_u32_e32 v7, 29, v7
	v_lshlrev_b32_e32 v5, v8, v5
	v_cndmask_b32_e32 v7, v9, v7, vcc_lo
	v_and_b32_e32 v5, 7, v5
	v_cndmask_b32_e32 v5, v6, v5, vcc_lo
	v_lshl_add_u32 v6, v7, 23, 0x3b800000
	v_lshlrev_b32_e32 v5, 20, v5
	v_or3_b32 v4, v4, v6, v5
	v_cvt_f64_f32_e32 v[40:41], v4
.LBB7_1460:
	s_or_b32 exec_lo, exec_lo, s8
.LBB7_1461:
	s_mov_b32 s7, -1
.LBB7_1462:
	s_mov_b32 s8, 0
.LBB7_1463:
	s_and_b32 vcc_lo, exec_lo, s8
	s_cbranch_vccz .LBB7_1494
; %bb.1464:
	s_cmp_gt_i32 s4, 22
	s_cbranch_scc0 .LBB7_1476
; %bb.1465:
	s_cmp_lt_i32 s4, 24
	s_cbranch_scc1 .LBB7_1477
; %bb.1466:
	s_cmp_gt_i32 s4, 24
	s_cbranch_scc0 .LBB7_1478
; %bb.1467:
	global_load_ubyte v4, v[2:3], off
	s_mov_b32 s7, exec_lo
	s_waitcnt vmcnt(0)
	v_cmpx_lt_i16_e32 0x7f, v4
	s_xor_b32 s7, exec_lo, s7
	s_cbranch_execz .LBB7_1471
; %bb.1468:
	s_mov_b32 s6, -1
	s_mov_b32 s8, exec_lo
	v_cmpx_eq_u16_e32 0x80, v4
; %bb.1469:
	s_xor_b32 s6, exec_lo, -1
; %bb.1470:
	s_or_b32 exec_lo, exec_lo, s8
	s_and_b32 s6, s6, exec_lo
.LBB7_1471:
	s_or_saveexec_b32 s7, s7
	v_bfrev_b32_e32 v40, 4
	v_mov_b32_e32 v41, 0x7ff80000
	s_xor_b32 exec_lo, exec_lo, s7
; %bb.1472:
	v_cmp_ne_u16_e32 vcc_lo, 0, v4
	v_mov_b32_e32 v40, 0
	v_mov_b32_e32 v41, 0
	s_andn2_b32 s6, s6, exec_lo
	s_and_b32 s8, vcc_lo, exec_lo
	s_or_b32 s6, s6, s8
; %bb.1473:
	s_or_b32 exec_lo, exec_lo, s7
	s_and_saveexec_b32 s7, s6
	s_cbranch_execz .LBB7_1475
; %bb.1474:
	v_and_b32_e32 v5, 0xffff, v4
	v_lshlrev_b32_e32 v4, 24, v4
	v_and_b32_e32 v6, 3, v5
	v_bfe_u32 v9, v5, 2, 5
	v_and_b32_e32 v4, 0x80000000, v4
	v_ffbh_u32_e32 v7, v6
	v_cmp_eq_u32_e32 vcc_lo, 0, v9
	v_min_u32_e32 v7, 32, v7
	v_subrev_nc_u32_e32 v8, 29, v7
	v_sub_nc_u32_e32 v7, 30, v7
	v_lshlrev_b32_e32 v5, v8, v5
	v_cndmask_b32_e32 v7, v9, v7, vcc_lo
	v_and_b32_e32 v5, 3, v5
	v_cndmask_b32_e32 v5, v6, v5, vcc_lo
	v_lshl_add_u32 v6, v7, 23, 0x37800000
	v_lshlrev_b32_e32 v5, 21, v5
	v_or3_b32 v4, v4, v6, v5
	v_cvt_f64_f32_e32 v[40:41], v4
.LBB7_1475:
	s_or_b32 exec_lo, exec_lo, s7
	s_mov_b32 s6, 0
	s_branch .LBB7_1479
.LBB7_1476:
	s_mov_b32 s6, -1
                                        ; implicit-def: $vgpr40_vgpr41
	s_branch .LBB7_1485
.LBB7_1477:
	s_mov_b32 s6, -1
                                        ; implicit-def: $vgpr40_vgpr41
	s_branch .LBB7_1482
.LBB7_1478:
	s_mov_b32 s6, -1
                                        ; implicit-def: $vgpr40_vgpr41
.LBB7_1479:
	s_and_b32 vcc_lo, exec_lo, s6
	s_cbranch_vccz .LBB7_1481
; %bb.1480:
	global_load_ubyte v4, v[2:3], off
	s_waitcnt vmcnt(0)
	v_lshlrev_b32_e32 v4, 24, v4
	v_and_b32_e32 v5, 0x7f000000, v4
	v_ffbh_u32_e32 v6, v5
	v_add_nc_u32_e32 v8, 0x1000000, v5
	v_cmp_ne_u32_e32 vcc_lo, 0, v5
	v_min_u32_e32 v6, 32, v6
	v_sub_nc_u32_e64 v6, v6, 4 clamp
	v_lshlrev_b32_e32 v7, v6, v5
	v_lshlrev_b32_e32 v6, 23, v6
	v_lshrrev_b32_e32 v7, 4, v7
	v_sub_nc_u32_e32 v6, v7, v6
	v_ashrrev_i32_e32 v7, 8, v8
	v_add_nc_u32_e32 v6, 0x3c000000, v6
	v_and_or_b32 v6, 0x7f800000, v7, v6
	v_cndmask_b32_e32 v5, 0, v6, vcc_lo
	v_and_or_b32 v4, 0x80000000, v4, v5
	v_cvt_f64_f32_e32 v[40:41], v4
.LBB7_1481:
	s_mov_b32 s6, 0
.LBB7_1482:
	s_andn2_b32 vcc_lo, exec_lo, s6
	s_cbranch_vccnz .LBB7_1484
; %bb.1483:
	global_load_ubyte v4, v[2:3], off
	s_waitcnt vmcnt(0)
	v_lshlrev_b32_e32 v5, 25, v4
	v_lshlrev_b16 v4, 8, v4
	v_lshrrev_b32_e32 v6, 4, v5
	v_and_or_b32 v7, 0x7f00, v4, 0.5
	v_cmp_gt_u32_e32 vcc_lo, 0x8000000, v5
	v_bfe_i32 v4, v4, 0, 16
	v_or_b32_e32 v6, 0x70000000, v6
	v_add_f32_e32 v7, -0.5, v7
	v_mul_f32_e32 v6, 0x7800000, v6
	v_cndmask_b32_e32 v5, v6, v7, vcc_lo
	v_and_or_b32 v4, 0x80000000, v4, v5
	v_cvt_f64_f32_e32 v[40:41], v4
.LBB7_1484:
	s_mov_b32 s6, 0
	s_mov_b32 s7, -1
.LBB7_1485:
	s_andn2_b32 vcc_lo, exec_lo, s6
	s_mov_b32 s6, 0
	s_cbranch_vccnz .LBB7_1494
; %bb.1486:
	s_cmp_gt_i32 s4, 14
	s_cbranch_scc0 .LBB7_1489
; %bb.1487:
	s_cmp_eq_u32 s4, 15
	s_cbranch_scc0 .LBB7_1490
; %bb.1488:
	global_load_ushort v4, v[2:3], off
	s_mov_b32 s5, 0
	s_mov_b32 s7, -1
	s_waitcnt vmcnt(0)
	v_lshlrev_b32_e32 v4, 16, v4
	v_cvt_f64_f32_e32 v[40:41], v4
	s_branch .LBB7_1492
.LBB7_1489:
	s_mov_b32 s6, -1
	s_branch .LBB7_1491
.LBB7_1490:
	s_mov_b32 s5, -1
.LBB7_1491:
                                        ; implicit-def: $vgpr40_vgpr41
.LBB7_1492:
	s_and_b32 vcc_lo, exec_lo, s6
	s_mov_b32 s6, 0
	s_cbranch_vccz .LBB7_1494
; %bb.1493:
	s_cmp_lg_u32 s4, 11
	s_mov_b32 s6, -1
	s_cselect_b32 s5, -1, 0
.LBB7_1494:
	s_and_b32 vcc_lo, exec_lo, s5
	s_cbranch_vccnz .LBB7_2027
; %bb.1495:
	s_andn2_b32 vcc_lo, exec_lo, s6
	s_cbranch_vccnz .LBB7_1497
.LBB7_1496:
	global_load_ubyte v4, v[2:3], off
	v_mov_b32_e32 v40, 0
	s_mov_b32 s7, -1
	s_waitcnt vmcnt(0)
	v_cmp_ne_u16_e32 vcc_lo, 0, v4
	v_cndmask_b32_e64 v41, 0, 0x3ff00000, vcc_lo
.LBB7_1497:
	s_mov_b32 s5, 0
.LBB7_1498:
	s_and_b32 vcc_lo, exec_lo, s5
	s_cbranch_vccz .LBB7_1547
; %bb.1499:
	s_cmp_lt_i32 s4, 5
	s_cbranch_scc1 .LBB7_1504
; %bb.1500:
	s_cmp_lt_i32 s4, 8
	s_cbranch_scc1 .LBB7_1505
; %bb.1501:
	s_cmp_lt_i32 s4, 9
	s_cbranch_scc1 .LBB7_1506
; %bb.1502:
	s_cmp_gt_i32 s4, 9
	s_cbranch_scc0 .LBB7_1507
; %bb.1503:
	global_load_dwordx2 v[40:41], v[2:3], off
	s_mov_b32 s5, 0
	s_branch .LBB7_1508
.LBB7_1504:
	s_mov_b32 s5, -1
                                        ; implicit-def: $vgpr40_vgpr41
	s_branch .LBB7_1526
.LBB7_1505:
	s_mov_b32 s5, -1
                                        ; implicit-def: $vgpr40_vgpr41
	s_branch .LBB7_1514
.LBB7_1506:
	s_mov_b32 s5, -1
                                        ; implicit-def: $vgpr40_vgpr41
	s_branch .LBB7_1511
.LBB7_1507:
	s_mov_b32 s5, -1
                                        ; implicit-def: $vgpr40_vgpr41
.LBB7_1508:
	s_andn2_b32 vcc_lo, exec_lo, s5
	s_cbranch_vccnz .LBB7_1510
; %bb.1509:
	global_load_dword v4, v[2:3], off
	s_waitcnt vmcnt(0)
	v_cvt_f64_f32_e32 v[40:41], v4
.LBB7_1510:
	s_mov_b32 s5, 0
.LBB7_1511:
	s_andn2_b32 vcc_lo, exec_lo, s5
	s_cbranch_vccnz .LBB7_1513
; %bb.1512:
	global_load_dword v4, v[2:3], off
	s_waitcnt vmcnt(0)
	v_cvt_f32_f16_e32 v4, v4
	v_cvt_f64_f32_e32 v[40:41], v4
.LBB7_1513:
	s_mov_b32 s5, 0
.LBB7_1514:
	s_andn2_b32 vcc_lo, exec_lo, s5
	s_cbranch_vccnz .LBB7_1525
; %bb.1515:
	s_cmp_lt_i32 s4, 6
	s_cbranch_scc1 .LBB7_1518
; %bb.1516:
	s_cmp_gt_i32 s4, 6
	s_cbranch_scc0 .LBB7_1519
; %bb.1517:
	global_load_dwordx2 v[40:41], v[2:3], off
	s_mov_b32 s5, 0
	s_branch .LBB7_1520
.LBB7_1518:
	s_mov_b32 s5, -1
                                        ; implicit-def: $vgpr40_vgpr41
	s_branch .LBB7_1523
.LBB7_1519:
	s_mov_b32 s5, -1
                                        ; implicit-def: $vgpr40_vgpr41
.LBB7_1520:
	s_andn2_b32 vcc_lo, exec_lo, s5
	s_cbranch_vccnz .LBB7_1522
; %bb.1521:
	global_load_dword v4, v[2:3], off
	s_waitcnt vmcnt(0)
	v_cvt_f64_f32_e32 v[40:41], v4
.LBB7_1522:
	s_mov_b32 s5, 0
.LBB7_1523:
	s_andn2_b32 vcc_lo, exec_lo, s5
	s_cbranch_vccnz .LBB7_1525
; %bb.1524:
	global_load_ushort v4, v[2:3], off
	s_waitcnt vmcnt(0)
	v_cvt_f32_f16_e32 v4, v4
	v_cvt_f64_f32_e32 v[40:41], v4
.LBB7_1525:
	s_mov_b32 s5, 0
.LBB7_1526:
	s_andn2_b32 vcc_lo, exec_lo, s5
	s_cbranch_vccnz .LBB7_1546
; %bb.1527:
	s_cmp_lt_i32 s4, 2
	s_cbranch_scc1 .LBB7_1531
; %bb.1528:
	s_cmp_lt_i32 s4, 3
	s_cbranch_scc1 .LBB7_1532
; %bb.1529:
	s_cmp_gt_i32 s4, 3
	s_cbranch_scc0 .LBB7_1533
; %bb.1530:
	global_load_dwordx2 v[4:5], v[2:3], off
	s_mov_b32 s5, 0
	s_waitcnt vmcnt(0)
	v_cvt_f64_i32_e32 v[5:6], v5
	v_cvt_f64_u32_e32 v[7:8], v4
	v_ldexp_f64 v[5:6], v[5:6], 32
	v_add_f64 v[40:41], v[5:6], v[7:8]
	s_branch .LBB7_1534
.LBB7_1531:
	s_mov_b32 s5, -1
                                        ; implicit-def: $vgpr40_vgpr41
	s_branch .LBB7_1540
.LBB7_1532:
	s_mov_b32 s5, -1
                                        ; implicit-def: $vgpr40_vgpr41
	s_branch .LBB7_1537
.LBB7_1533:
	s_mov_b32 s5, -1
                                        ; implicit-def: $vgpr40_vgpr41
.LBB7_1534:
	s_andn2_b32 vcc_lo, exec_lo, s5
	s_cbranch_vccnz .LBB7_1536
; %bb.1535:
	global_load_dword v4, v[2:3], off
	s_waitcnt vmcnt(0)
	v_cvt_f64_i32_e32 v[40:41], v4
.LBB7_1536:
	s_mov_b32 s5, 0
.LBB7_1537:
	s_andn2_b32 vcc_lo, exec_lo, s5
	s_cbranch_vccnz .LBB7_1539
; %bb.1538:
	global_load_sshort v4, v[2:3], off
	s_waitcnt vmcnt(0)
	v_cvt_f64_i32_e32 v[40:41], v4
.LBB7_1539:
	s_mov_b32 s5, 0
.LBB7_1540:
	s_andn2_b32 vcc_lo, exec_lo, s5
	s_cbranch_vccnz .LBB7_1546
; %bb.1541:
	s_cmp_gt_i32 s4, 0
	s_mov_b32 s4, 0
	s_cbranch_scc0 .LBB7_1543
; %bb.1542:
	global_load_sbyte v4, v[2:3], off
	s_waitcnt vmcnt(0)
	v_cvt_f64_i32_e32 v[40:41], v4
	s_branch .LBB7_1544
.LBB7_1543:
	s_mov_b32 s4, -1
                                        ; implicit-def: $vgpr40_vgpr41
.LBB7_1544:
	s_andn2_b32 vcc_lo, exec_lo, s4
	s_cbranch_vccnz .LBB7_1546
; %bb.1545:
	global_load_ubyte v2, v[2:3], off
	s_waitcnt vmcnt(0)
	v_cvt_f64_u32_e32 v[40:41], v2
.LBB7_1546:
	s_mov_b32 s7, -1
.LBB7_1547:
	s_andn2_b32 vcc_lo, exec_lo, s7
	s_cbranch_vccnz .LBB7_1981
; %bb.1548:
	s_getpc_b64 s[4:5]
	s_add_u32 s4, s4, _ZZZZN2at6native12_GLOBAL__N_121bessel_j1_kernel_cudaERNS_18TensorIteratorBaseEENKUlvE_clEvENKUlvE_clEvENKUldE_clEd@rel32@lo+4
	s_addc_u32 s5, s5, _ZZZZN2at6native12_GLOBAL__N_121bessel_j1_kernel_cudaERNS_18TensorIteratorBaseEENKUlvE_clEvENKUlvE_clEvENKUldE_clEd@rel32@hi+12
	s_swappc_b64 s[30:31], s[4:5]
	v_mul_lo_u32 v46, s26, v46
	s_and_b32 s40, s28, 0xff
	s_cmp_lt_i32 s40, 11
	v_ashrrev_i32_e32 v2, 31, v46
	v_add_co_u32 v4, vcc_lo, s36, v46
	v_add_co_ci_u32_e64 v5, null, s37, v2, vcc_lo
	s_cbranch_scc1 .LBB7_1626
; %bb.1549:
	s_and_b32 s5, 0xffff, s40
	s_mov_b32 s8, -1
	s_mov_b32 s6, 0
	s_cmp_gt_i32 s5, 25
	s_mov_b32 s7, 0
	s_mov_b32 s4, 0
	s_cbranch_scc0 .LBB7_1582
; %bb.1550:
	s_cmp_gt_i32 s5, 28
	s_cbranch_scc0 .LBB7_1565
; %bb.1551:
	s_cmp_gt_i32 s5, 43
	;; [unrolled: 3-line block ×3, first 2 shown]
	s_cbranch_scc0 .LBB7_1555
; %bb.1553:
	s_mov_b32 s4, -1
	s_mov_b32 s8, 0
	s_cmp_eq_u32 s5, 46
	s_cbranch_scc0 .LBB7_1555
; %bb.1554:
	v_cvt_f32_f64_e32 v2, v[0:1]
	s_mov_b32 s4, 0
	s_mov_b32 s7, -1
	v_bfe_u32 v3, v2, 16, 1
	v_cmp_o_f32_e32 vcc_lo, v2, v2
	v_add3_u32 v2, v2, v3, 0x7fff
	v_mov_b32_e32 v3, 0x7fc0
	v_cndmask_b32_sdwa v2, v3, v2, vcc_lo dst_sel:DWORD dst_unused:UNUSED_PAD src0_sel:DWORD src1_sel:WORD_1
	global_store_dword v[4:5], v2, off
.LBB7_1555:
	s_and_b32 vcc_lo, exec_lo, s8
	s_cbranch_vccz .LBB7_1560
; %bb.1556:
	s_cmp_eq_u32 s5, 44
	s_mov_b32 s4, -1
	s_cbranch_scc0 .LBB7_1560
; %bb.1557:
	v_cvt_f32_f64_e32 v2, v[0:1]
	v_mov_b32_e32 v3, 0xff
	s_mov_b32 s7, exec_lo
	v_bfe_u32 v6, v2, 23, 8
	v_cmpx_ne_u32_e32 0xff, v6
	s_cbranch_execz .LBB7_1559
; %bb.1558:
	v_and_b32_e32 v3, 0x400000, v2
	v_and_or_b32 v6, 0x3fffff, v2, v6
	v_lshrrev_b32_e32 v2, 23, v2
	v_cmp_ne_u32_e32 vcc_lo, 0, v3
	v_cmp_ne_u32_e64 s4, 0, v6
	s_and_b32 s4, vcc_lo, s4
	v_cndmask_b32_e64 v3, 0, 1, s4
	v_add_nc_u32_e32 v3, v2, v3
.LBB7_1559:
	s_or_b32 exec_lo, exec_lo, s7
	s_mov_b32 s4, 0
	s_mov_b32 s7, -1
	global_store_byte v[4:5], v3, off
.LBB7_1560:
	s_mov_b32 s8, 0
.LBB7_1561:
	s_and_b32 vcc_lo, exec_lo, s8
	s_cbranch_vccz .LBB7_1564
; %bb.1562:
	s_cmp_eq_u32 s5, 29
	s_mov_b32 s4, -1
	s_cbranch_scc0 .LBB7_1564
; %bb.1563:
	v_trunc_f64_e32 v[2:3], v[0:1]
	s_mov_b32 s4, 0
	s_mov_b32 s7, -1
	v_ldexp_f64 v[6:7], v[2:3], 0xffffffe0
	v_floor_f64_e32 v[6:7], v[6:7]
	v_fma_f64 v[2:3], 0xc1f00000, v[6:7], v[2:3]
	v_cvt_u32_f64_e32 v7, v[6:7]
	v_cvt_u32_f64_e32 v6, v[2:3]
	global_store_dwordx2 v[4:5], v[6:7], off
.LBB7_1564:
	s_mov_b32 s8, 0
.LBB7_1565:
	s_and_b32 vcc_lo, exec_lo, s8
	s_cbranch_vccz .LBB7_1581
; %bb.1566:
	s_cmp_lt_i32 s5, 27
	s_mov_b32 s7, -1
	s_cbranch_scc1 .LBB7_1572
; %bb.1567:
	v_cvt_u32_f64_e32 v2, v[0:1]
	s_cmp_gt_i32 s5, 27
	s_cbranch_scc0 .LBB7_1569
; %bb.1568:
	s_mov_b32 s7, 0
	global_store_dword v[4:5], v2, off
.LBB7_1569:
	s_andn2_b32 vcc_lo, exec_lo, s7
	s_cbranch_vccnz .LBB7_1571
; %bb.1570:
	global_store_short v[4:5], v2, off
.LBB7_1571:
	s_mov_b32 s7, 0
.LBB7_1572:
	s_andn2_b32 vcc_lo, exec_lo, s7
	s_cbranch_vccnz .LBB7_1580
; %bb.1573:
	v_cvt_f32_f64_e32 v2, v[0:1]
	v_mov_b32_e32 v6, 0x80
	s_mov_b32 s7, exec_lo
	v_and_b32_e32 v3, 0x7fffffff, v2
	v_cmpx_gt_u32_e32 0x43800000, v3
	s_cbranch_execz .LBB7_1579
; %bb.1574:
	v_cmp_lt_u32_e32 vcc_lo, 0x3bffffff, v3
	s_mov_b32 s8, 0
                                        ; implicit-def: $vgpr3
	s_and_saveexec_b32 s9, vcc_lo
	s_xor_b32 s9, exec_lo, s9
	s_cbranch_execz .LBB7_2028
; %bb.1575:
	v_bfe_u32 v3, v2, 20, 1
	s_mov_b32 s8, exec_lo
	v_add3_u32 v3, v2, v3, 0x487ffff
	v_lshrrev_b32_e32 v3, 20, v3
	s_andn2_saveexec_b32 s9, s9
	s_cbranch_execnz .LBB7_2029
.LBB7_1576:
	s_or_b32 exec_lo, exec_lo, s9
	v_mov_b32_e32 v6, 0
	s_and_saveexec_b32 s9, s8
.LBB7_1577:
	v_lshrrev_b32_e32 v2, 24, v2
	v_and_or_b32 v6, 0x80, v2, v3
.LBB7_1578:
	s_or_b32 exec_lo, exec_lo, s9
.LBB7_1579:
	s_or_b32 exec_lo, exec_lo, s7
	global_store_byte v[4:5], v6, off
.LBB7_1580:
	s_mov_b32 s7, -1
.LBB7_1581:
	s_mov_b32 s8, 0
.LBB7_1582:
	s_and_b32 vcc_lo, exec_lo, s8
	s_cbranch_vccz .LBB7_1622
; %bb.1583:
	s_cmp_gt_i32 s5, 22
	s_mov_b32 s6, -1
	s_cbranch_scc0 .LBB7_1615
; %bb.1584:
	s_cmp_lt_i32 s5, 24
	s_cbranch_scc1 .LBB7_1604
; %bb.1585:
	s_cmp_gt_i32 s5, 24
	s_cbranch_scc0 .LBB7_1593
; %bb.1586:
	v_cvt_f32_f64_e32 v2, v[0:1]
	v_mov_b32_e32 v6, 0x80
	s_mov_b32 s6, exec_lo
	v_and_b32_e32 v3, 0x7fffffff, v2
	v_cmpx_gt_u32_e32 0x47800000, v3
	s_cbranch_execz .LBB7_1592
; %bb.1587:
	v_cmp_lt_u32_e32 vcc_lo, 0x37ffffff, v3
	s_mov_b32 s7, 0
                                        ; implicit-def: $vgpr3
	s_and_saveexec_b32 s8, vcc_lo
	s_xor_b32 s8, exec_lo, s8
	s_cbranch_execz .LBB7_2031
; %bb.1588:
	v_bfe_u32 v3, v2, 21, 1
	s_mov_b32 s7, exec_lo
	v_add3_u32 v3, v2, v3, 0x88fffff
	v_lshrrev_b32_e32 v3, 21, v3
	s_andn2_saveexec_b32 s8, s8
	s_cbranch_execnz .LBB7_2032
.LBB7_1589:
	s_or_b32 exec_lo, exec_lo, s8
	v_mov_b32_e32 v6, 0
	s_and_saveexec_b32 s8, s7
.LBB7_1590:
	v_lshrrev_b32_e32 v2, 24, v2
	v_and_or_b32 v6, 0x80, v2, v3
.LBB7_1591:
	s_or_b32 exec_lo, exec_lo, s8
.LBB7_1592:
	s_or_b32 exec_lo, exec_lo, s6
	s_mov_b32 s6, 0
	global_store_byte v[4:5], v6, off
.LBB7_1593:
	s_and_b32 vcc_lo, exec_lo, s6
	s_cbranch_vccz .LBB7_1603
; %bb.1594:
	v_cvt_f32_f64_e32 v2, v[0:1]
	s_mov_b32 s6, exec_lo
                                        ; implicit-def: $vgpr3
	v_and_b32_e32 v6, 0x7fffffff, v2
	v_cmpx_gt_u32_e32 0x43f00000, v6
	s_xor_b32 s6, exec_lo, s6
	s_cbranch_execz .LBB7_1600
; %bb.1595:
	s_mov_b32 s7, exec_lo
                                        ; implicit-def: $vgpr3
	v_cmpx_lt_u32_e32 0x3c7fffff, v6
	s_xor_b32 s7, exec_lo, s7
; %bb.1596:
	v_bfe_u32 v3, v2, 20, 1
	v_add3_u32 v3, v2, v3, 0x407ffff
	v_and_b32_e32 v6, 0xff00000, v3
	v_lshrrev_b32_e32 v3, 20, v3
	v_cmp_ne_u32_e32 vcc_lo, 0x7f00000, v6
	v_cndmask_b32_e32 v3, 0x7e, v3, vcc_lo
; %bb.1597:
	s_andn2_saveexec_b32 s7, s7
; %bb.1598:
	v_add_f32_e64 v3, 0x46800000, |v2|
; %bb.1599:
	s_or_b32 exec_lo, exec_lo, s7
                                        ; implicit-def: $vgpr6
.LBB7_1600:
	s_andn2_saveexec_b32 s6, s6
; %bb.1601:
	v_mov_b32_e32 v3, 0x7f
	v_cmp_lt_u32_e32 vcc_lo, 0x7f800000, v6
	v_cndmask_b32_e32 v3, 0x7e, v3, vcc_lo
; %bb.1602:
	s_or_b32 exec_lo, exec_lo, s6
	v_lshrrev_b32_e32 v2, 24, v2
	v_and_or_b32 v2, 0x80, v2, v3
	global_store_byte v[4:5], v2, off
.LBB7_1603:
	s_mov_b32 s6, 0
.LBB7_1604:
	s_andn2_b32 vcc_lo, exec_lo, s6
	s_cbranch_vccnz .LBB7_1614
; %bb.1605:
	v_cvt_f32_f64_e32 v2, v[0:1]
	s_mov_b32 s6, exec_lo
                                        ; implicit-def: $vgpr3
	v_and_b32_e32 v6, 0x7fffffff, v2
	v_cmpx_gt_u32_e32 0x47800000, v6
	s_xor_b32 s6, exec_lo, s6
	s_cbranch_execz .LBB7_1611
; %bb.1606:
	s_mov_b32 s7, exec_lo
                                        ; implicit-def: $vgpr3
	v_cmpx_lt_u32_e32 0x387fffff, v6
	s_xor_b32 s7, exec_lo, s7
; %bb.1607:
	v_bfe_u32 v3, v2, 21, 1
	v_add3_u32 v3, v2, v3, 0x80fffff
	v_lshrrev_b32_e32 v3, 21, v3
; %bb.1608:
	s_andn2_saveexec_b32 s7, s7
; %bb.1609:
	v_add_f32_e64 v3, 0x43000000, |v2|
; %bb.1610:
	s_or_b32 exec_lo, exec_lo, s7
                                        ; implicit-def: $vgpr6
.LBB7_1611:
	s_andn2_saveexec_b32 s6, s6
; %bb.1612:
	v_mov_b32_e32 v3, 0x7f
	v_cmp_lt_u32_e32 vcc_lo, 0x7f800000, v6
	v_cndmask_b32_e32 v3, 0x7c, v3, vcc_lo
; %bb.1613:
	s_or_b32 exec_lo, exec_lo, s6
	v_lshrrev_b32_e32 v2, 24, v2
	v_and_or_b32 v2, 0x80, v2, v3
	global_store_byte v[4:5], v2, off
.LBB7_1614:
	s_mov_b32 s6, 0
	s_mov_b32 s7, -1
.LBB7_1615:
	s_andn2_b32 vcc_lo, exec_lo, s6
	s_mov_b32 s6, 0
	s_cbranch_vccnz .LBB7_1622
; %bb.1616:
	s_cmp_gt_i32 s5, 14
	s_mov_b32 s6, -1
	s_cbranch_scc0 .LBB7_1620
; %bb.1617:
	s_cmp_eq_u32 s5, 15
	s_mov_b32 s4, -1
	s_cbranch_scc0 .LBB7_1619
; %bb.1618:
	v_cvt_f32_f64_e32 v2, v[0:1]
	s_mov_b32 s4, 0
	s_mov_b32 s7, -1
	v_bfe_u32 v3, v2, 16, 1
	v_cmp_o_f32_e32 vcc_lo, v2, v2
	v_add3_u32 v2, v2, v3, 0x7fff
	v_mov_b32_e32 v3, 0x7fc0
	v_cndmask_b32_sdwa v2, v3, v2, vcc_lo dst_sel:DWORD dst_unused:UNUSED_PAD src0_sel:DWORD src1_sel:WORD_1
	global_store_short v[4:5], v2, off
.LBB7_1619:
	s_mov_b32 s6, 0
.LBB7_1620:
	s_and_b32 vcc_lo, exec_lo, s6
	s_mov_b32 s6, 0
	s_cbranch_vccz .LBB7_1622
; %bb.1621:
	s_cmp_lg_u32 s5, 11
	s_mov_b32 s6, -1
	s_cselect_b32 s4, -1, 0
.LBB7_1622:
	s_and_b32 vcc_lo, exec_lo, s4
	s_cbranch_vccnz .LBB7_2030
; %bb.1623:
	s_andn2_b32 vcc_lo, exec_lo, s6
	s_cbranch_vccnz .LBB7_1625
.LBB7_1624:
	v_cmp_neq_f64_e32 vcc_lo, 0, v[0:1]
	s_mov_b32 s7, -1
	v_cndmask_b32_e64 v2, 0, 1, vcc_lo
	global_store_byte v[4:5], v2, off
.LBB7_1625:
	s_mov_b32 s4, 0
	s_branch .LBB7_1627
.LBB7_1626:
	s_mov_b32 s4, -1
	s_mov_b32 s7, 0
.LBB7_1627:
	s_and_b32 vcc_lo, exec_lo, s4
	s_cbranch_vccz .LBB7_1666
; %bb.1628:
	s_and_b32 s4, 0xffff, s40
	s_mov_b32 s5, -1
	s_cmp_lt_i32 s4, 5
	s_cbranch_scc1 .LBB7_1649
; %bb.1629:
	s_cmp_lt_i32 s4, 8
	s_cbranch_scc1 .LBB7_1639
; %bb.1630:
	;; [unrolled: 3-line block ×3, first 2 shown]
	s_cmp_gt_i32 s4, 9
	s_cbranch_scc0 .LBB7_1633
; %bb.1632:
	v_mov_b32_e32 v2, 0
	s_mov_b32 s5, 0
	v_mov_b32_e32 v3, v2
	global_store_dwordx4 v[4:5], v[0:3], off
.LBB7_1633:
	s_andn2_b32 vcc_lo, exec_lo, s5
	s_cbranch_vccnz .LBB7_1635
; %bb.1634:
	v_cvt_f32_f64_e32 v2, v[0:1]
	v_mov_b32_e32 v3, 0
	global_store_dwordx2 v[4:5], v[2:3], off
.LBB7_1635:
	s_mov_b32 s5, 0
.LBB7_1636:
	s_andn2_b32 vcc_lo, exec_lo, s5
	s_cbranch_vccnz .LBB7_1638
; %bb.1637:
	v_and_or_b32 v2, 0x1ff, v1, v0
	v_lshrrev_b32_e32 v3, 8, v1
	v_bfe_u32 v6, v1, 20, 11
	v_cmp_ne_u32_e32 vcc_lo, 0, v2
	v_sub_nc_u32_e32 v7, 0x3f1, v6
	v_add_nc_u32_e32 v6, 0xfffffc10, v6
	v_cndmask_b32_e64 v2, 0, 1, vcc_lo
	v_and_or_b32 v2, 0xffe, v3, v2
	v_med3_i32 v3, v7, 0, 13
	v_or_b32_e32 v7, 0x1000, v2
	v_lshrrev_b32_e32 v8, v3, v7
	v_lshlrev_b32_e32 v3, v3, v8
	v_cmp_ne_u32_e32 vcc_lo, v3, v7
	v_lshl_or_b32 v7, v6, 12, v2
	v_cndmask_b32_e64 v3, 0, 1, vcc_lo
	v_cmp_gt_i32_e32 vcc_lo, 1, v6
	v_or_b32_e32 v3, v8, v3
	v_cndmask_b32_e32 v3, v7, v3, vcc_lo
	v_and_b32_e32 v7, 7, v3
	v_lshrrev_b32_e32 v3, 2, v3
	v_cmp_lt_i32_e32 vcc_lo, 5, v7
	v_cndmask_b32_e64 v8, 0, 1, vcc_lo
	v_cmp_eq_u32_e32 vcc_lo, 3, v7
	v_cndmask_b32_e64 v7, 0, 1, vcc_lo
	v_cmp_ne_u32_e32 vcc_lo, 0, v2
	v_or_b32_e32 v7, v7, v8
	v_mov_b32_e32 v8, 0x7e00
	v_add_nc_u32_e32 v3, v3, v7
	v_cndmask_b32_e32 v2, 0x7c00, v8, vcc_lo
	v_cmp_gt_i32_e32 vcc_lo, 31, v6
	v_cndmask_b32_e32 v3, 0x7c00, v3, vcc_lo
	v_cmp_eq_u32_e32 vcc_lo, 0x40f, v6
	v_cndmask_b32_e32 v2, v3, v2, vcc_lo
	v_lshrrev_b32_e32 v3, 16, v1
	v_and_or_b32 v2, 0x8000, v3, v2
	v_and_b32_e32 v2, 0xffff, v2
	global_store_dword v[4:5], v2, off
.LBB7_1638:
	s_mov_b32 s5, 0
.LBB7_1639:
	s_andn2_b32 vcc_lo, exec_lo, s5
	s_cbranch_vccnz .LBB7_1648
; %bb.1640:
	s_cmp_lt_i32 s4, 6
	s_mov_b32 s5, -1
	s_cbranch_scc1 .LBB7_1646
; %bb.1641:
	s_cmp_gt_i32 s4, 6
	s_cbranch_scc0 .LBB7_1643
; %bb.1642:
	s_mov_b32 s5, 0
	global_store_dwordx2 v[4:5], v[0:1], off
.LBB7_1643:
	s_andn2_b32 vcc_lo, exec_lo, s5
	s_cbranch_vccnz .LBB7_1645
; %bb.1644:
	v_cvt_f32_f64_e32 v2, v[0:1]
	global_store_dword v[4:5], v2, off
.LBB7_1645:
	s_mov_b32 s5, 0
.LBB7_1646:
	s_andn2_b32 vcc_lo, exec_lo, s5
	s_cbranch_vccnz .LBB7_1648
; %bb.1647:
	v_and_or_b32 v2, 0x1ff, v1, v0
	v_lshrrev_b32_e32 v3, 8, v1
	v_bfe_u32 v6, v1, 20, 11
	v_cmp_ne_u32_e32 vcc_lo, 0, v2
	v_sub_nc_u32_e32 v7, 0x3f1, v6
	v_add_nc_u32_e32 v6, 0xfffffc10, v6
	v_cndmask_b32_e64 v2, 0, 1, vcc_lo
	v_and_or_b32 v2, 0xffe, v3, v2
	v_med3_i32 v3, v7, 0, 13
	v_or_b32_e32 v7, 0x1000, v2
	v_lshrrev_b32_e32 v8, v3, v7
	v_lshlrev_b32_e32 v3, v3, v8
	v_cmp_ne_u32_e32 vcc_lo, v3, v7
	v_lshl_or_b32 v7, v6, 12, v2
	v_cndmask_b32_e64 v3, 0, 1, vcc_lo
	v_cmp_gt_i32_e32 vcc_lo, 1, v6
	v_or_b32_e32 v3, v8, v3
	v_cndmask_b32_e32 v3, v7, v3, vcc_lo
	v_and_b32_e32 v7, 7, v3
	v_lshrrev_b32_e32 v3, 2, v3
	v_cmp_lt_i32_e32 vcc_lo, 5, v7
	v_cndmask_b32_e64 v8, 0, 1, vcc_lo
	v_cmp_eq_u32_e32 vcc_lo, 3, v7
	v_cndmask_b32_e64 v7, 0, 1, vcc_lo
	v_cmp_ne_u32_e32 vcc_lo, 0, v2
	v_or_b32_e32 v7, v7, v8
	v_mov_b32_e32 v8, 0x7e00
	v_add_nc_u32_e32 v3, v3, v7
	v_cndmask_b32_e32 v2, 0x7c00, v8, vcc_lo
	v_cmp_gt_i32_e32 vcc_lo, 31, v6
	v_cndmask_b32_e32 v3, 0x7c00, v3, vcc_lo
	v_cmp_eq_u32_e32 vcc_lo, 0x40f, v6
	v_cndmask_b32_e32 v2, v3, v2, vcc_lo
	v_lshrrev_b32_e32 v3, 16, v1
	v_and_or_b32 v2, 0x8000, v3, v2
	global_store_short v[4:5], v2, off
.LBB7_1648:
	s_mov_b32 s5, 0
.LBB7_1649:
	s_andn2_b32 vcc_lo, exec_lo, s5
	s_cbranch_vccnz .LBB7_1665
; %bb.1650:
	s_cmp_lt_i32 s4, 2
	s_mov_b32 s5, -1
	s_cbranch_scc1 .LBB7_1660
; %bb.1651:
	s_cmp_lt_i32 s4, 3
	s_cbranch_scc1 .LBB7_1657
; %bb.1652:
	s_cmp_gt_i32 s4, 3
	s_cbranch_scc0 .LBB7_1654
; %bb.1653:
	v_trunc_f64_e32 v[2:3], v[0:1]
	s_mov_b32 s5, 0
	v_ldexp_f64 v[6:7], v[2:3], 0xffffffe0
	v_floor_f64_e32 v[6:7], v[6:7]
	v_fma_f64 v[2:3], 0xc1f00000, v[6:7], v[2:3]
	v_cvt_i32_f64_e32 v7, v[6:7]
	v_cvt_u32_f64_e32 v6, v[2:3]
	global_store_dwordx2 v[4:5], v[6:7], off
.LBB7_1654:
	s_andn2_b32 vcc_lo, exec_lo, s5
	s_cbranch_vccnz .LBB7_1656
; %bb.1655:
	v_cvt_i32_f64_e32 v2, v[0:1]
	global_store_dword v[4:5], v2, off
.LBB7_1656:
	s_mov_b32 s5, 0
.LBB7_1657:
	s_andn2_b32 vcc_lo, exec_lo, s5
	s_cbranch_vccnz .LBB7_1659
; %bb.1658:
	v_cvt_i32_f64_e32 v2, v[0:1]
	global_store_short v[4:5], v2, off
.LBB7_1659:
	s_mov_b32 s5, 0
.LBB7_1660:
	s_andn2_b32 vcc_lo, exec_lo, s5
	s_cbranch_vccnz .LBB7_1665
; %bb.1661:
	s_cmp_gt_i32 s4, 0
	s_mov_b32 s4, -1
	s_cbranch_scc0 .LBB7_1663
; %bb.1662:
	v_cvt_i32_f64_e32 v2, v[0:1]
	s_mov_b32 s4, 0
	global_store_byte v[4:5], v2, off
.LBB7_1663:
	s_andn2_b32 vcc_lo, exec_lo, s4
	s_cbranch_vccnz .LBB7_1665
; %bb.1664:
	v_trunc_f64_e32 v[0:1], v[0:1]
	v_ldexp_f64 v[2:3], v[0:1], 0xffffffe0
	v_floor_f64_e32 v[2:3], v[2:3]
	v_fma_f64 v[0:1], 0xc1f00000, v[2:3], v[0:1]
	v_cvt_u32_f64_e32 v0, v[0:1]
	global_store_byte v[4:5], v0, off
.LBB7_1665:
	s_mov_b32 s7, -1
.LBB7_1666:
	s_andn2_b32 vcc_lo, exec_lo, s7
	s_cbranch_vccnz .LBB7_1981
; %bb.1667:
	v_mov_b32_e32 v0, v44
	v_mov_b32_e32 v1, v45
	s_getpc_b64 s[4:5]
	s_add_u32 s4, s4, _ZZZZN2at6native12_GLOBAL__N_121bessel_j1_kernel_cudaERNS_18TensorIteratorBaseEENKUlvE_clEvENKUlvE_clEvENKUldE_clEd@rel32@lo+4
	s_addc_u32 s5, s5, _ZZZZN2at6native12_GLOBAL__N_121bessel_j1_kernel_cudaERNS_18TensorIteratorBaseEENKUlvE_clEvENKUlvE_clEvENKUldE_clEd@rel32@hi+12
	s_swappc_b64 s[30:31], s[4:5]
	s_lshl_b32 s26, s26, 7
	s_cmp_lt_i32 s40, 11
	v_add_nc_u32_e32 v44, s26, v46
	v_ashrrev_i32_e32 v2, 31, v44
	v_add_co_u32 v4, vcc_lo, s36, v44
	v_add_co_ci_u32_e64 v5, null, s37, v2, vcc_lo
	s_cbranch_scc1 .LBB7_1745
; %bb.1668:
	s_and_b32 s5, 0xffff, s40
	s_mov_b32 s8, -1
	s_mov_b32 s6, 0
	s_cmp_gt_i32 s5, 25
	s_mov_b32 s7, 0
	s_mov_b32 s4, 0
	s_cbranch_scc0 .LBB7_1701
; %bb.1669:
	s_cmp_gt_i32 s5, 28
	s_cbranch_scc0 .LBB7_1684
; %bb.1670:
	s_cmp_gt_i32 s5, 43
	;; [unrolled: 3-line block ×3, first 2 shown]
	s_cbranch_scc0 .LBB7_1674
; %bb.1672:
	s_mov_b32 s4, -1
	s_mov_b32 s8, 0
	s_cmp_eq_u32 s5, 46
	s_cbranch_scc0 .LBB7_1674
; %bb.1673:
	v_cvt_f32_f64_e32 v2, v[0:1]
	s_mov_b32 s4, 0
	s_mov_b32 s7, -1
	v_bfe_u32 v3, v2, 16, 1
	v_cmp_o_f32_e32 vcc_lo, v2, v2
	v_add3_u32 v2, v2, v3, 0x7fff
	v_mov_b32_e32 v3, 0x7fc0
	v_cndmask_b32_sdwa v2, v3, v2, vcc_lo dst_sel:DWORD dst_unused:UNUSED_PAD src0_sel:DWORD src1_sel:WORD_1
	global_store_dword v[4:5], v2, off
.LBB7_1674:
	s_and_b32 vcc_lo, exec_lo, s8
	s_cbranch_vccz .LBB7_1679
; %bb.1675:
	s_cmp_eq_u32 s5, 44
	s_mov_b32 s4, -1
	s_cbranch_scc0 .LBB7_1679
; %bb.1676:
	v_cvt_f32_f64_e32 v2, v[0:1]
	v_mov_b32_e32 v3, 0xff
	s_mov_b32 s7, exec_lo
	v_bfe_u32 v6, v2, 23, 8
	v_cmpx_ne_u32_e32 0xff, v6
	s_cbranch_execz .LBB7_1678
; %bb.1677:
	v_and_b32_e32 v3, 0x400000, v2
	v_and_or_b32 v6, 0x3fffff, v2, v6
	v_lshrrev_b32_e32 v2, 23, v2
	v_cmp_ne_u32_e32 vcc_lo, 0, v3
	v_cmp_ne_u32_e64 s4, 0, v6
	s_and_b32 s4, vcc_lo, s4
	v_cndmask_b32_e64 v3, 0, 1, s4
	v_add_nc_u32_e32 v3, v2, v3
.LBB7_1678:
	s_or_b32 exec_lo, exec_lo, s7
	s_mov_b32 s4, 0
	s_mov_b32 s7, -1
	global_store_byte v[4:5], v3, off
.LBB7_1679:
	s_mov_b32 s8, 0
.LBB7_1680:
	s_and_b32 vcc_lo, exec_lo, s8
	s_cbranch_vccz .LBB7_1683
; %bb.1681:
	s_cmp_eq_u32 s5, 29
	s_mov_b32 s4, -1
	s_cbranch_scc0 .LBB7_1683
; %bb.1682:
	v_trunc_f64_e32 v[2:3], v[0:1]
	s_mov_b32 s4, 0
	s_mov_b32 s7, -1
	v_ldexp_f64 v[6:7], v[2:3], 0xffffffe0
	v_floor_f64_e32 v[6:7], v[6:7]
	v_fma_f64 v[2:3], 0xc1f00000, v[6:7], v[2:3]
	v_cvt_u32_f64_e32 v7, v[6:7]
	v_cvt_u32_f64_e32 v6, v[2:3]
	global_store_dwordx2 v[4:5], v[6:7], off
.LBB7_1683:
	s_mov_b32 s8, 0
.LBB7_1684:
	s_and_b32 vcc_lo, exec_lo, s8
	s_cbranch_vccz .LBB7_1700
; %bb.1685:
	s_cmp_lt_i32 s5, 27
	s_mov_b32 s7, -1
	s_cbranch_scc1 .LBB7_1691
; %bb.1686:
	v_cvt_u32_f64_e32 v2, v[0:1]
	s_cmp_gt_i32 s5, 27
	s_cbranch_scc0 .LBB7_1688
; %bb.1687:
	s_mov_b32 s7, 0
	global_store_dword v[4:5], v2, off
.LBB7_1688:
	s_andn2_b32 vcc_lo, exec_lo, s7
	s_cbranch_vccnz .LBB7_1690
; %bb.1689:
	global_store_short v[4:5], v2, off
.LBB7_1690:
	s_mov_b32 s7, 0
.LBB7_1691:
	s_andn2_b32 vcc_lo, exec_lo, s7
	s_cbranch_vccnz .LBB7_1699
; %bb.1692:
	v_cvt_f32_f64_e32 v2, v[0:1]
	v_mov_b32_e32 v6, 0x80
	s_mov_b32 s7, exec_lo
	v_and_b32_e32 v3, 0x7fffffff, v2
	v_cmpx_gt_u32_e32 0x43800000, v3
	s_cbranch_execz .LBB7_1698
; %bb.1693:
	v_cmp_lt_u32_e32 vcc_lo, 0x3bffffff, v3
	s_mov_b32 s8, 0
                                        ; implicit-def: $vgpr3
	s_and_saveexec_b32 s9, vcc_lo
	s_xor_b32 s9, exec_lo, s9
	s_cbranch_execz .LBB7_2033
; %bb.1694:
	v_bfe_u32 v3, v2, 20, 1
	s_mov_b32 s8, exec_lo
	v_add3_u32 v3, v2, v3, 0x487ffff
	v_lshrrev_b32_e32 v3, 20, v3
	s_andn2_saveexec_b32 s9, s9
	s_cbranch_execnz .LBB7_2034
.LBB7_1695:
	s_or_b32 exec_lo, exec_lo, s9
	v_mov_b32_e32 v6, 0
	s_and_saveexec_b32 s9, s8
.LBB7_1696:
	v_lshrrev_b32_e32 v2, 24, v2
	v_and_or_b32 v6, 0x80, v2, v3
.LBB7_1697:
	s_or_b32 exec_lo, exec_lo, s9
.LBB7_1698:
	s_or_b32 exec_lo, exec_lo, s7
	global_store_byte v[4:5], v6, off
.LBB7_1699:
	s_mov_b32 s7, -1
.LBB7_1700:
	s_mov_b32 s8, 0
.LBB7_1701:
	s_and_b32 vcc_lo, exec_lo, s8
	s_cbranch_vccz .LBB7_1741
; %bb.1702:
	s_cmp_gt_i32 s5, 22
	s_mov_b32 s6, -1
	s_cbranch_scc0 .LBB7_1734
; %bb.1703:
	s_cmp_lt_i32 s5, 24
	s_cbranch_scc1 .LBB7_1723
; %bb.1704:
	s_cmp_gt_i32 s5, 24
	s_cbranch_scc0 .LBB7_1712
; %bb.1705:
	v_cvt_f32_f64_e32 v2, v[0:1]
	v_mov_b32_e32 v6, 0x80
	s_mov_b32 s6, exec_lo
	v_and_b32_e32 v3, 0x7fffffff, v2
	v_cmpx_gt_u32_e32 0x47800000, v3
	s_cbranch_execz .LBB7_1711
; %bb.1706:
	v_cmp_lt_u32_e32 vcc_lo, 0x37ffffff, v3
	s_mov_b32 s7, 0
                                        ; implicit-def: $vgpr3
	s_and_saveexec_b32 s8, vcc_lo
	s_xor_b32 s8, exec_lo, s8
	s_cbranch_execz .LBB7_2036
; %bb.1707:
	v_bfe_u32 v3, v2, 21, 1
	s_mov_b32 s7, exec_lo
	v_add3_u32 v3, v2, v3, 0x88fffff
	v_lshrrev_b32_e32 v3, 21, v3
	s_andn2_saveexec_b32 s8, s8
	s_cbranch_execnz .LBB7_2037
.LBB7_1708:
	s_or_b32 exec_lo, exec_lo, s8
	v_mov_b32_e32 v6, 0
	s_and_saveexec_b32 s8, s7
.LBB7_1709:
	v_lshrrev_b32_e32 v2, 24, v2
	v_and_or_b32 v6, 0x80, v2, v3
.LBB7_1710:
	s_or_b32 exec_lo, exec_lo, s8
.LBB7_1711:
	s_or_b32 exec_lo, exec_lo, s6
	s_mov_b32 s6, 0
	global_store_byte v[4:5], v6, off
.LBB7_1712:
	s_and_b32 vcc_lo, exec_lo, s6
	s_cbranch_vccz .LBB7_1722
; %bb.1713:
	v_cvt_f32_f64_e32 v2, v[0:1]
	s_mov_b32 s6, exec_lo
                                        ; implicit-def: $vgpr3
	v_and_b32_e32 v6, 0x7fffffff, v2
	v_cmpx_gt_u32_e32 0x43f00000, v6
	s_xor_b32 s6, exec_lo, s6
	s_cbranch_execz .LBB7_1719
; %bb.1714:
	s_mov_b32 s7, exec_lo
                                        ; implicit-def: $vgpr3
	v_cmpx_lt_u32_e32 0x3c7fffff, v6
	s_xor_b32 s7, exec_lo, s7
; %bb.1715:
	v_bfe_u32 v3, v2, 20, 1
	v_add3_u32 v3, v2, v3, 0x407ffff
	v_and_b32_e32 v6, 0xff00000, v3
	v_lshrrev_b32_e32 v3, 20, v3
	v_cmp_ne_u32_e32 vcc_lo, 0x7f00000, v6
	v_cndmask_b32_e32 v3, 0x7e, v3, vcc_lo
; %bb.1716:
	s_andn2_saveexec_b32 s7, s7
; %bb.1717:
	v_add_f32_e64 v3, 0x46800000, |v2|
; %bb.1718:
	s_or_b32 exec_lo, exec_lo, s7
                                        ; implicit-def: $vgpr6
.LBB7_1719:
	s_andn2_saveexec_b32 s6, s6
; %bb.1720:
	v_mov_b32_e32 v3, 0x7f
	v_cmp_lt_u32_e32 vcc_lo, 0x7f800000, v6
	v_cndmask_b32_e32 v3, 0x7e, v3, vcc_lo
; %bb.1721:
	s_or_b32 exec_lo, exec_lo, s6
	v_lshrrev_b32_e32 v2, 24, v2
	v_and_or_b32 v2, 0x80, v2, v3
	global_store_byte v[4:5], v2, off
.LBB7_1722:
	s_mov_b32 s6, 0
.LBB7_1723:
	s_andn2_b32 vcc_lo, exec_lo, s6
	s_cbranch_vccnz .LBB7_1733
; %bb.1724:
	v_cvt_f32_f64_e32 v2, v[0:1]
	s_mov_b32 s6, exec_lo
                                        ; implicit-def: $vgpr3
	v_and_b32_e32 v6, 0x7fffffff, v2
	v_cmpx_gt_u32_e32 0x47800000, v6
	s_xor_b32 s6, exec_lo, s6
	s_cbranch_execz .LBB7_1730
; %bb.1725:
	s_mov_b32 s7, exec_lo
                                        ; implicit-def: $vgpr3
	v_cmpx_lt_u32_e32 0x387fffff, v6
	s_xor_b32 s7, exec_lo, s7
; %bb.1726:
	v_bfe_u32 v3, v2, 21, 1
	v_add3_u32 v3, v2, v3, 0x80fffff
	v_lshrrev_b32_e32 v3, 21, v3
; %bb.1727:
	s_andn2_saveexec_b32 s7, s7
; %bb.1728:
	v_add_f32_e64 v3, 0x43000000, |v2|
; %bb.1729:
	s_or_b32 exec_lo, exec_lo, s7
                                        ; implicit-def: $vgpr6
.LBB7_1730:
	s_andn2_saveexec_b32 s6, s6
; %bb.1731:
	v_mov_b32_e32 v3, 0x7f
	v_cmp_lt_u32_e32 vcc_lo, 0x7f800000, v6
	v_cndmask_b32_e32 v3, 0x7c, v3, vcc_lo
; %bb.1732:
	s_or_b32 exec_lo, exec_lo, s6
	v_lshrrev_b32_e32 v2, 24, v2
	v_and_or_b32 v2, 0x80, v2, v3
	global_store_byte v[4:5], v2, off
.LBB7_1733:
	s_mov_b32 s6, 0
	s_mov_b32 s7, -1
.LBB7_1734:
	s_andn2_b32 vcc_lo, exec_lo, s6
	s_mov_b32 s6, 0
	s_cbranch_vccnz .LBB7_1741
; %bb.1735:
	s_cmp_gt_i32 s5, 14
	s_mov_b32 s6, -1
	s_cbranch_scc0 .LBB7_1739
; %bb.1736:
	s_cmp_eq_u32 s5, 15
	s_mov_b32 s4, -1
	s_cbranch_scc0 .LBB7_1738
; %bb.1737:
	v_cvt_f32_f64_e32 v2, v[0:1]
	s_mov_b32 s4, 0
	s_mov_b32 s7, -1
	v_bfe_u32 v3, v2, 16, 1
	v_cmp_o_f32_e32 vcc_lo, v2, v2
	v_add3_u32 v2, v2, v3, 0x7fff
	v_mov_b32_e32 v3, 0x7fc0
	v_cndmask_b32_sdwa v2, v3, v2, vcc_lo dst_sel:DWORD dst_unused:UNUSED_PAD src0_sel:DWORD src1_sel:WORD_1
	global_store_short v[4:5], v2, off
.LBB7_1738:
	s_mov_b32 s6, 0
.LBB7_1739:
	s_and_b32 vcc_lo, exec_lo, s6
	s_mov_b32 s6, 0
	s_cbranch_vccz .LBB7_1741
; %bb.1740:
	s_cmp_lg_u32 s5, 11
	s_mov_b32 s6, -1
	s_cselect_b32 s4, -1, 0
.LBB7_1741:
	s_and_b32 vcc_lo, exec_lo, s4
	s_cbranch_vccnz .LBB7_2035
; %bb.1742:
	s_andn2_b32 vcc_lo, exec_lo, s6
	s_cbranch_vccnz .LBB7_1744
.LBB7_1743:
	v_cmp_neq_f64_e32 vcc_lo, 0, v[0:1]
	s_mov_b32 s7, -1
	v_cndmask_b32_e64 v2, 0, 1, vcc_lo
	global_store_byte v[4:5], v2, off
.LBB7_1744:
	s_mov_b32 s4, 0
	s_branch .LBB7_1746
.LBB7_1745:
	s_mov_b32 s4, -1
	s_mov_b32 s7, 0
.LBB7_1746:
	s_and_b32 vcc_lo, exec_lo, s4
	s_cbranch_vccz .LBB7_1785
; %bb.1747:
	s_and_b32 s4, 0xffff, s40
	s_mov_b32 s5, -1
	s_cmp_lt_i32 s4, 5
	s_cbranch_scc1 .LBB7_1768
; %bb.1748:
	s_cmp_lt_i32 s4, 8
	s_cbranch_scc1 .LBB7_1758
; %bb.1749:
	;; [unrolled: 3-line block ×3, first 2 shown]
	s_cmp_gt_i32 s4, 9
	s_cbranch_scc0 .LBB7_1752
; %bb.1751:
	v_mov_b32_e32 v2, 0
	s_mov_b32 s5, 0
	v_mov_b32_e32 v3, v2
	global_store_dwordx4 v[4:5], v[0:3], off
.LBB7_1752:
	s_andn2_b32 vcc_lo, exec_lo, s5
	s_cbranch_vccnz .LBB7_1754
; %bb.1753:
	v_cvt_f32_f64_e32 v2, v[0:1]
	v_mov_b32_e32 v3, 0
	global_store_dwordx2 v[4:5], v[2:3], off
.LBB7_1754:
	s_mov_b32 s5, 0
.LBB7_1755:
	s_andn2_b32 vcc_lo, exec_lo, s5
	s_cbranch_vccnz .LBB7_1757
; %bb.1756:
	v_and_or_b32 v2, 0x1ff, v1, v0
	v_lshrrev_b32_e32 v3, 8, v1
	v_bfe_u32 v6, v1, 20, 11
	v_cmp_ne_u32_e32 vcc_lo, 0, v2
	v_sub_nc_u32_e32 v7, 0x3f1, v6
	v_add_nc_u32_e32 v6, 0xfffffc10, v6
	v_cndmask_b32_e64 v2, 0, 1, vcc_lo
	v_and_or_b32 v2, 0xffe, v3, v2
	v_med3_i32 v3, v7, 0, 13
	v_or_b32_e32 v7, 0x1000, v2
	v_lshrrev_b32_e32 v8, v3, v7
	v_lshlrev_b32_e32 v3, v3, v8
	v_cmp_ne_u32_e32 vcc_lo, v3, v7
	v_lshl_or_b32 v7, v6, 12, v2
	v_cndmask_b32_e64 v3, 0, 1, vcc_lo
	v_cmp_gt_i32_e32 vcc_lo, 1, v6
	v_or_b32_e32 v3, v8, v3
	v_cndmask_b32_e32 v3, v7, v3, vcc_lo
	v_and_b32_e32 v7, 7, v3
	v_lshrrev_b32_e32 v3, 2, v3
	v_cmp_lt_i32_e32 vcc_lo, 5, v7
	v_cndmask_b32_e64 v8, 0, 1, vcc_lo
	v_cmp_eq_u32_e32 vcc_lo, 3, v7
	v_cndmask_b32_e64 v7, 0, 1, vcc_lo
	v_cmp_ne_u32_e32 vcc_lo, 0, v2
	v_or_b32_e32 v7, v7, v8
	v_mov_b32_e32 v8, 0x7e00
	v_add_nc_u32_e32 v3, v3, v7
	v_cndmask_b32_e32 v2, 0x7c00, v8, vcc_lo
	v_cmp_gt_i32_e32 vcc_lo, 31, v6
	v_cndmask_b32_e32 v3, 0x7c00, v3, vcc_lo
	v_cmp_eq_u32_e32 vcc_lo, 0x40f, v6
	v_cndmask_b32_e32 v2, v3, v2, vcc_lo
	v_lshrrev_b32_e32 v3, 16, v1
	v_and_or_b32 v2, 0x8000, v3, v2
	v_and_b32_e32 v2, 0xffff, v2
	global_store_dword v[4:5], v2, off
.LBB7_1757:
	s_mov_b32 s5, 0
.LBB7_1758:
	s_andn2_b32 vcc_lo, exec_lo, s5
	s_cbranch_vccnz .LBB7_1767
; %bb.1759:
	s_cmp_lt_i32 s4, 6
	s_mov_b32 s5, -1
	s_cbranch_scc1 .LBB7_1765
; %bb.1760:
	s_cmp_gt_i32 s4, 6
	s_cbranch_scc0 .LBB7_1762
; %bb.1761:
	s_mov_b32 s5, 0
	global_store_dwordx2 v[4:5], v[0:1], off
.LBB7_1762:
	s_andn2_b32 vcc_lo, exec_lo, s5
	s_cbranch_vccnz .LBB7_1764
; %bb.1763:
	v_cvt_f32_f64_e32 v2, v[0:1]
	global_store_dword v[4:5], v2, off
.LBB7_1764:
	s_mov_b32 s5, 0
.LBB7_1765:
	s_andn2_b32 vcc_lo, exec_lo, s5
	s_cbranch_vccnz .LBB7_1767
; %bb.1766:
	v_and_or_b32 v2, 0x1ff, v1, v0
	v_lshrrev_b32_e32 v3, 8, v1
	v_bfe_u32 v6, v1, 20, 11
	v_cmp_ne_u32_e32 vcc_lo, 0, v2
	v_sub_nc_u32_e32 v7, 0x3f1, v6
	v_add_nc_u32_e32 v6, 0xfffffc10, v6
	v_cndmask_b32_e64 v2, 0, 1, vcc_lo
	v_and_or_b32 v2, 0xffe, v3, v2
	v_med3_i32 v3, v7, 0, 13
	v_or_b32_e32 v7, 0x1000, v2
	v_lshrrev_b32_e32 v8, v3, v7
	v_lshlrev_b32_e32 v3, v3, v8
	v_cmp_ne_u32_e32 vcc_lo, v3, v7
	v_lshl_or_b32 v7, v6, 12, v2
	v_cndmask_b32_e64 v3, 0, 1, vcc_lo
	v_cmp_gt_i32_e32 vcc_lo, 1, v6
	v_or_b32_e32 v3, v8, v3
	v_cndmask_b32_e32 v3, v7, v3, vcc_lo
	v_and_b32_e32 v7, 7, v3
	v_lshrrev_b32_e32 v3, 2, v3
	v_cmp_lt_i32_e32 vcc_lo, 5, v7
	v_cndmask_b32_e64 v8, 0, 1, vcc_lo
	v_cmp_eq_u32_e32 vcc_lo, 3, v7
	v_cndmask_b32_e64 v7, 0, 1, vcc_lo
	v_cmp_ne_u32_e32 vcc_lo, 0, v2
	v_or_b32_e32 v7, v7, v8
	v_mov_b32_e32 v8, 0x7e00
	v_add_nc_u32_e32 v3, v3, v7
	v_cndmask_b32_e32 v2, 0x7c00, v8, vcc_lo
	v_cmp_gt_i32_e32 vcc_lo, 31, v6
	v_cndmask_b32_e32 v3, 0x7c00, v3, vcc_lo
	v_cmp_eq_u32_e32 vcc_lo, 0x40f, v6
	v_cndmask_b32_e32 v2, v3, v2, vcc_lo
	v_lshrrev_b32_e32 v3, 16, v1
	v_and_or_b32 v2, 0x8000, v3, v2
	global_store_short v[4:5], v2, off
.LBB7_1767:
	s_mov_b32 s5, 0
.LBB7_1768:
	s_andn2_b32 vcc_lo, exec_lo, s5
	s_cbranch_vccnz .LBB7_1784
; %bb.1769:
	s_cmp_lt_i32 s4, 2
	s_mov_b32 s5, -1
	s_cbranch_scc1 .LBB7_1779
; %bb.1770:
	s_cmp_lt_i32 s4, 3
	s_cbranch_scc1 .LBB7_1776
; %bb.1771:
	s_cmp_gt_i32 s4, 3
	s_cbranch_scc0 .LBB7_1773
; %bb.1772:
	v_trunc_f64_e32 v[2:3], v[0:1]
	s_mov_b32 s5, 0
	v_ldexp_f64 v[6:7], v[2:3], 0xffffffe0
	v_floor_f64_e32 v[6:7], v[6:7]
	v_fma_f64 v[2:3], 0xc1f00000, v[6:7], v[2:3]
	v_cvt_i32_f64_e32 v7, v[6:7]
	v_cvt_u32_f64_e32 v6, v[2:3]
	global_store_dwordx2 v[4:5], v[6:7], off
.LBB7_1773:
	s_andn2_b32 vcc_lo, exec_lo, s5
	s_cbranch_vccnz .LBB7_1775
; %bb.1774:
	v_cvt_i32_f64_e32 v2, v[0:1]
	global_store_dword v[4:5], v2, off
.LBB7_1775:
	s_mov_b32 s5, 0
.LBB7_1776:
	s_andn2_b32 vcc_lo, exec_lo, s5
	s_cbranch_vccnz .LBB7_1778
; %bb.1777:
	v_cvt_i32_f64_e32 v2, v[0:1]
	global_store_short v[4:5], v2, off
.LBB7_1778:
	s_mov_b32 s5, 0
.LBB7_1779:
	s_andn2_b32 vcc_lo, exec_lo, s5
	s_cbranch_vccnz .LBB7_1784
; %bb.1780:
	s_cmp_gt_i32 s4, 0
	s_mov_b32 s4, -1
	s_cbranch_scc0 .LBB7_1782
; %bb.1781:
	v_cvt_i32_f64_e32 v2, v[0:1]
	s_mov_b32 s4, 0
	global_store_byte v[4:5], v2, off
.LBB7_1782:
	s_andn2_b32 vcc_lo, exec_lo, s4
	s_cbranch_vccnz .LBB7_1784
; %bb.1783:
	v_trunc_f64_e32 v[0:1], v[0:1]
	v_ldexp_f64 v[2:3], v[0:1], 0xffffffe0
	v_floor_f64_e32 v[2:3], v[2:3]
	v_fma_f64 v[0:1], 0xc1f00000, v[2:3], v[0:1]
	v_cvt_u32_f64_e32 v0, v[0:1]
	global_store_byte v[4:5], v0, off
.LBB7_1784:
	s_mov_b32 s7, -1
.LBB7_1785:
	s_andn2_b32 vcc_lo, exec_lo, s7
	s_cbranch_vccnz .LBB7_1981
; %bb.1786:
	v_mov_b32_e32 v0, v42
	v_mov_b32_e32 v1, v43
	s_getpc_b64 s[4:5]
	s_add_u32 s4, s4, _ZZZZN2at6native12_GLOBAL__N_121bessel_j1_kernel_cudaERNS_18TensorIteratorBaseEENKUlvE_clEvENKUlvE_clEvENKUldE_clEd@rel32@lo+4
	s_addc_u32 s5, s5, _ZZZZN2at6native12_GLOBAL__N_121bessel_j1_kernel_cudaERNS_18TensorIteratorBaseEENKUlvE_clEvENKUlvE_clEvENKUldE_clEd@rel32@hi+12
	s_swappc_b64 s[30:31], s[4:5]
	v_add_nc_u32_e32 v42, s26, v44
	s_cmp_lt_i32 s40, 11
	v_ashrrev_i32_e32 v2, 31, v42
	v_add_co_u32 v4, vcc_lo, s36, v42
	v_add_co_ci_u32_e64 v5, null, s37, v2, vcc_lo
	s_cbranch_scc1 .LBB7_1864
; %bb.1787:
	s_and_b32 s5, 0xffff, s40
	s_mov_b32 s8, -1
	s_mov_b32 s6, 0
	s_cmp_gt_i32 s5, 25
	s_mov_b32 s7, 0
	s_mov_b32 s4, 0
	s_cbranch_scc0 .LBB7_1820
; %bb.1788:
	s_cmp_gt_i32 s5, 28
	s_cbranch_scc0 .LBB7_1803
; %bb.1789:
	s_cmp_gt_i32 s5, 43
	;; [unrolled: 3-line block ×3, first 2 shown]
	s_cbranch_scc0 .LBB7_1793
; %bb.1791:
	s_mov_b32 s4, -1
	s_mov_b32 s8, 0
	s_cmp_eq_u32 s5, 46
	s_cbranch_scc0 .LBB7_1793
; %bb.1792:
	v_cvt_f32_f64_e32 v2, v[0:1]
	s_mov_b32 s4, 0
	s_mov_b32 s7, -1
	v_bfe_u32 v3, v2, 16, 1
	v_cmp_o_f32_e32 vcc_lo, v2, v2
	v_add3_u32 v2, v2, v3, 0x7fff
	v_mov_b32_e32 v3, 0x7fc0
	v_cndmask_b32_sdwa v2, v3, v2, vcc_lo dst_sel:DWORD dst_unused:UNUSED_PAD src0_sel:DWORD src1_sel:WORD_1
	global_store_dword v[4:5], v2, off
.LBB7_1793:
	s_and_b32 vcc_lo, exec_lo, s8
	s_cbranch_vccz .LBB7_1798
; %bb.1794:
	s_cmp_eq_u32 s5, 44
	s_mov_b32 s4, -1
	s_cbranch_scc0 .LBB7_1798
; %bb.1795:
	v_cvt_f32_f64_e32 v2, v[0:1]
	v_mov_b32_e32 v3, 0xff
	s_mov_b32 s7, exec_lo
	v_bfe_u32 v6, v2, 23, 8
	v_cmpx_ne_u32_e32 0xff, v6
	s_cbranch_execz .LBB7_1797
; %bb.1796:
	v_and_b32_e32 v3, 0x400000, v2
	v_and_or_b32 v6, 0x3fffff, v2, v6
	v_lshrrev_b32_e32 v2, 23, v2
	v_cmp_ne_u32_e32 vcc_lo, 0, v3
	v_cmp_ne_u32_e64 s4, 0, v6
	s_and_b32 s4, vcc_lo, s4
	v_cndmask_b32_e64 v3, 0, 1, s4
	v_add_nc_u32_e32 v3, v2, v3
.LBB7_1797:
	s_or_b32 exec_lo, exec_lo, s7
	s_mov_b32 s4, 0
	s_mov_b32 s7, -1
	global_store_byte v[4:5], v3, off
.LBB7_1798:
	s_mov_b32 s8, 0
.LBB7_1799:
	s_and_b32 vcc_lo, exec_lo, s8
	s_cbranch_vccz .LBB7_1802
; %bb.1800:
	s_cmp_eq_u32 s5, 29
	s_mov_b32 s4, -1
	s_cbranch_scc0 .LBB7_1802
; %bb.1801:
	v_trunc_f64_e32 v[2:3], v[0:1]
	s_mov_b32 s4, 0
	s_mov_b32 s7, -1
	v_ldexp_f64 v[6:7], v[2:3], 0xffffffe0
	v_floor_f64_e32 v[6:7], v[6:7]
	v_fma_f64 v[2:3], 0xc1f00000, v[6:7], v[2:3]
	v_cvt_u32_f64_e32 v7, v[6:7]
	v_cvt_u32_f64_e32 v6, v[2:3]
	global_store_dwordx2 v[4:5], v[6:7], off
.LBB7_1802:
	s_mov_b32 s8, 0
.LBB7_1803:
	s_and_b32 vcc_lo, exec_lo, s8
	s_cbranch_vccz .LBB7_1819
; %bb.1804:
	s_cmp_lt_i32 s5, 27
	s_mov_b32 s7, -1
	s_cbranch_scc1 .LBB7_1810
; %bb.1805:
	v_cvt_u32_f64_e32 v2, v[0:1]
	s_cmp_gt_i32 s5, 27
	s_cbranch_scc0 .LBB7_1807
; %bb.1806:
	s_mov_b32 s7, 0
	global_store_dword v[4:5], v2, off
.LBB7_1807:
	s_andn2_b32 vcc_lo, exec_lo, s7
	s_cbranch_vccnz .LBB7_1809
; %bb.1808:
	global_store_short v[4:5], v2, off
.LBB7_1809:
	s_mov_b32 s7, 0
.LBB7_1810:
	s_andn2_b32 vcc_lo, exec_lo, s7
	s_cbranch_vccnz .LBB7_1818
; %bb.1811:
	v_cvt_f32_f64_e32 v2, v[0:1]
	v_mov_b32_e32 v6, 0x80
	s_mov_b32 s7, exec_lo
	v_and_b32_e32 v3, 0x7fffffff, v2
	v_cmpx_gt_u32_e32 0x43800000, v3
	s_cbranch_execz .LBB7_1817
; %bb.1812:
	v_cmp_lt_u32_e32 vcc_lo, 0x3bffffff, v3
	s_mov_b32 s8, 0
                                        ; implicit-def: $vgpr3
	s_and_saveexec_b32 s9, vcc_lo
	s_xor_b32 s9, exec_lo, s9
	s_cbranch_execz .LBB7_2038
; %bb.1813:
	v_bfe_u32 v3, v2, 20, 1
	s_mov_b32 s8, exec_lo
	v_add3_u32 v3, v2, v3, 0x487ffff
	v_lshrrev_b32_e32 v3, 20, v3
	s_andn2_saveexec_b32 s9, s9
	s_cbranch_execnz .LBB7_2039
.LBB7_1814:
	s_or_b32 exec_lo, exec_lo, s9
	v_mov_b32_e32 v6, 0
	s_and_saveexec_b32 s9, s8
.LBB7_1815:
	v_lshrrev_b32_e32 v2, 24, v2
	v_and_or_b32 v6, 0x80, v2, v3
.LBB7_1816:
	s_or_b32 exec_lo, exec_lo, s9
.LBB7_1817:
	s_or_b32 exec_lo, exec_lo, s7
	global_store_byte v[4:5], v6, off
.LBB7_1818:
	s_mov_b32 s7, -1
.LBB7_1819:
	s_mov_b32 s8, 0
.LBB7_1820:
	s_and_b32 vcc_lo, exec_lo, s8
	s_cbranch_vccz .LBB7_1860
; %bb.1821:
	s_cmp_gt_i32 s5, 22
	s_mov_b32 s6, -1
	s_cbranch_scc0 .LBB7_1853
; %bb.1822:
	s_cmp_lt_i32 s5, 24
	s_cbranch_scc1 .LBB7_1842
; %bb.1823:
	s_cmp_gt_i32 s5, 24
	s_cbranch_scc0 .LBB7_1831
; %bb.1824:
	v_cvt_f32_f64_e32 v2, v[0:1]
	v_mov_b32_e32 v6, 0x80
	s_mov_b32 s6, exec_lo
	v_and_b32_e32 v3, 0x7fffffff, v2
	v_cmpx_gt_u32_e32 0x47800000, v3
	s_cbranch_execz .LBB7_1830
; %bb.1825:
	v_cmp_lt_u32_e32 vcc_lo, 0x37ffffff, v3
	s_mov_b32 s7, 0
                                        ; implicit-def: $vgpr3
	s_and_saveexec_b32 s8, vcc_lo
	s_xor_b32 s8, exec_lo, s8
	s_cbranch_execz .LBB7_2041
; %bb.1826:
	v_bfe_u32 v3, v2, 21, 1
	s_mov_b32 s7, exec_lo
	v_add3_u32 v3, v2, v3, 0x88fffff
	v_lshrrev_b32_e32 v3, 21, v3
	s_andn2_saveexec_b32 s8, s8
	s_cbranch_execnz .LBB7_2042
.LBB7_1827:
	s_or_b32 exec_lo, exec_lo, s8
	v_mov_b32_e32 v6, 0
	s_and_saveexec_b32 s8, s7
.LBB7_1828:
	v_lshrrev_b32_e32 v2, 24, v2
	v_and_or_b32 v6, 0x80, v2, v3
.LBB7_1829:
	s_or_b32 exec_lo, exec_lo, s8
.LBB7_1830:
	s_or_b32 exec_lo, exec_lo, s6
	s_mov_b32 s6, 0
	global_store_byte v[4:5], v6, off
.LBB7_1831:
	s_and_b32 vcc_lo, exec_lo, s6
	s_cbranch_vccz .LBB7_1841
; %bb.1832:
	v_cvt_f32_f64_e32 v2, v[0:1]
	s_mov_b32 s6, exec_lo
                                        ; implicit-def: $vgpr3
	v_and_b32_e32 v6, 0x7fffffff, v2
	v_cmpx_gt_u32_e32 0x43f00000, v6
	s_xor_b32 s6, exec_lo, s6
	s_cbranch_execz .LBB7_1838
; %bb.1833:
	s_mov_b32 s7, exec_lo
                                        ; implicit-def: $vgpr3
	v_cmpx_lt_u32_e32 0x3c7fffff, v6
	s_xor_b32 s7, exec_lo, s7
; %bb.1834:
	v_bfe_u32 v3, v2, 20, 1
	v_add3_u32 v3, v2, v3, 0x407ffff
	v_and_b32_e32 v6, 0xff00000, v3
	v_lshrrev_b32_e32 v3, 20, v3
	v_cmp_ne_u32_e32 vcc_lo, 0x7f00000, v6
	v_cndmask_b32_e32 v3, 0x7e, v3, vcc_lo
; %bb.1835:
	s_andn2_saveexec_b32 s7, s7
; %bb.1836:
	v_add_f32_e64 v3, 0x46800000, |v2|
; %bb.1837:
	s_or_b32 exec_lo, exec_lo, s7
                                        ; implicit-def: $vgpr6
.LBB7_1838:
	s_andn2_saveexec_b32 s6, s6
; %bb.1839:
	v_mov_b32_e32 v3, 0x7f
	v_cmp_lt_u32_e32 vcc_lo, 0x7f800000, v6
	v_cndmask_b32_e32 v3, 0x7e, v3, vcc_lo
; %bb.1840:
	s_or_b32 exec_lo, exec_lo, s6
	v_lshrrev_b32_e32 v2, 24, v2
	v_and_or_b32 v2, 0x80, v2, v3
	global_store_byte v[4:5], v2, off
.LBB7_1841:
	s_mov_b32 s6, 0
.LBB7_1842:
	s_andn2_b32 vcc_lo, exec_lo, s6
	s_cbranch_vccnz .LBB7_1852
; %bb.1843:
	v_cvt_f32_f64_e32 v2, v[0:1]
	s_mov_b32 s6, exec_lo
                                        ; implicit-def: $vgpr3
	v_and_b32_e32 v6, 0x7fffffff, v2
	v_cmpx_gt_u32_e32 0x47800000, v6
	s_xor_b32 s6, exec_lo, s6
	s_cbranch_execz .LBB7_1849
; %bb.1844:
	s_mov_b32 s7, exec_lo
                                        ; implicit-def: $vgpr3
	v_cmpx_lt_u32_e32 0x387fffff, v6
	s_xor_b32 s7, exec_lo, s7
; %bb.1845:
	v_bfe_u32 v3, v2, 21, 1
	v_add3_u32 v3, v2, v3, 0x80fffff
	v_lshrrev_b32_e32 v3, 21, v3
; %bb.1846:
	s_andn2_saveexec_b32 s7, s7
; %bb.1847:
	v_add_f32_e64 v3, 0x43000000, |v2|
; %bb.1848:
	s_or_b32 exec_lo, exec_lo, s7
                                        ; implicit-def: $vgpr6
.LBB7_1849:
	s_andn2_saveexec_b32 s6, s6
; %bb.1850:
	v_mov_b32_e32 v3, 0x7f
	v_cmp_lt_u32_e32 vcc_lo, 0x7f800000, v6
	v_cndmask_b32_e32 v3, 0x7c, v3, vcc_lo
; %bb.1851:
	s_or_b32 exec_lo, exec_lo, s6
	v_lshrrev_b32_e32 v2, 24, v2
	v_and_or_b32 v2, 0x80, v2, v3
	global_store_byte v[4:5], v2, off
.LBB7_1852:
	s_mov_b32 s6, 0
	s_mov_b32 s7, -1
.LBB7_1853:
	s_andn2_b32 vcc_lo, exec_lo, s6
	s_mov_b32 s6, 0
	s_cbranch_vccnz .LBB7_1860
; %bb.1854:
	s_cmp_gt_i32 s5, 14
	s_mov_b32 s6, -1
	s_cbranch_scc0 .LBB7_1858
; %bb.1855:
	s_cmp_eq_u32 s5, 15
	s_mov_b32 s4, -1
	s_cbranch_scc0 .LBB7_1857
; %bb.1856:
	v_cvt_f32_f64_e32 v2, v[0:1]
	s_mov_b32 s4, 0
	s_mov_b32 s7, -1
	v_bfe_u32 v3, v2, 16, 1
	v_cmp_o_f32_e32 vcc_lo, v2, v2
	v_add3_u32 v2, v2, v3, 0x7fff
	v_mov_b32_e32 v3, 0x7fc0
	v_cndmask_b32_sdwa v2, v3, v2, vcc_lo dst_sel:DWORD dst_unused:UNUSED_PAD src0_sel:DWORD src1_sel:WORD_1
	global_store_short v[4:5], v2, off
.LBB7_1857:
	s_mov_b32 s6, 0
.LBB7_1858:
	s_and_b32 vcc_lo, exec_lo, s6
	s_mov_b32 s6, 0
	s_cbranch_vccz .LBB7_1860
; %bb.1859:
	s_cmp_lg_u32 s5, 11
	s_mov_b32 s6, -1
	s_cselect_b32 s4, -1, 0
.LBB7_1860:
	s_and_b32 vcc_lo, exec_lo, s4
	s_cbranch_vccnz .LBB7_2040
; %bb.1861:
	s_andn2_b32 vcc_lo, exec_lo, s6
	s_cbranch_vccnz .LBB7_1863
.LBB7_1862:
	v_cmp_neq_f64_e32 vcc_lo, 0, v[0:1]
	s_mov_b32 s7, -1
	v_cndmask_b32_e64 v2, 0, 1, vcc_lo
	global_store_byte v[4:5], v2, off
.LBB7_1863:
	s_mov_b32 s4, 0
	s_branch .LBB7_1865
.LBB7_1864:
	s_mov_b32 s4, -1
	s_mov_b32 s7, 0
.LBB7_1865:
	s_and_b32 vcc_lo, exec_lo, s4
	s_cbranch_vccz .LBB7_1904
; %bb.1866:
	s_and_b32 s4, 0xffff, s40
	s_mov_b32 s5, -1
	s_cmp_lt_i32 s4, 5
	s_cbranch_scc1 .LBB7_1887
; %bb.1867:
	s_cmp_lt_i32 s4, 8
	s_cbranch_scc1 .LBB7_1877
; %bb.1868:
	;; [unrolled: 3-line block ×3, first 2 shown]
	s_cmp_gt_i32 s4, 9
	s_cbranch_scc0 .LBB7_1871
; %bb.1870:
	v_mov_b32_e32 v2, 0
	s_mov_b32 s5, 0
	v_mov_b32_e32 v3, v2
	global_store_dwordx4 v[4:5], v[0:3], off
.LBB7_1871:
	s_andn2_b32 vcc_lo, exec_lo, s5
	s_cbranch_vccnz .LBB7_1873
; %bb.1872:
	v_cvt_f32_f64_e32 v2, v[0:1]
	v_mov_b32_e32 v3, 0
	global_store_dwordx2 v[4:5], v[2:3], off
.LBB7_1873:
	s_mov_b32 s5, 0
.LBB7_1874:
	s_andn2_b32 vcc_lo, exec_lo, s5
	s_cbranch_vccnz .LBB7_1876
; %bb.1875:
	v_and_or_b32 v2, 0x1ff, v1, v0
	v_lshrrev_b32_e32 v3, 8, v1
	v_bfe_u32 v6, v1, 20, 11
	v_cmp_ne_u32_e32 vcc_lo, 0, v2
	v_sub_nc_u32_e32 v7, 0x3f1, v6
	v_add_nc_u32_e32 v6, 0xfffffc10, v6
	v_cndmask_b32_e64 v2, 0, 1, vcc_lo
	v_and_or_b32 v2, 0xffe, v3, v2
	v_med3_i32 v3, v7, 0, 13
	v_or_b32_e32 v7, 0x1000, v2
	v_lshrrev_b32_e32 v8, v3, v7
	v_lshlrev_b32_e32 v3, v3, v8
	v_cmp_ne_u32_e32 vcc_lo, v3, v7
	v_lshl_or_b32 v7, v6, 12, v2
	v_cndmask_b32_e64 v3, 0, 1, vcc_lo
	v_cmp_gt_i32_e32 vcc_lo, 1, v6
	v_or_b32_e32 v3, v8, v3
	v_cndmask_b32_e32 v3, v7, v3, vcc_lo
	v_and_b32_e32 v7, 7, v3
	v_lshrrev_b32_e32 v3, 2, v3
	v_cmp_lt_i32_e32 vcc_lo, 5, v7
	v_cndmask_b32_e64 v8, 0, 1, vcc_lo
	v_cmp_eq_u32_e32 vcc_lo, 3, v7
	v_cndmask_b32_e64 v7, 0, 1, vcc_lo
	v_cmp_ne_u32_e32 vcc_lo, 0, v2
	v_or_b32_e32 v7, v7, v8
	v_mov_b32_e32 v8, 0x7e00
	v_add_nc_u32_e32 v3, v3, v7
	v_cndmask_b32_e32 v2, 0x7c00, v8, vcc_lo
	v_cmp_gt_i32_e32 vcc_lo, 31, v6
	v_cndmask_b32_e32 v3, 0x7c00, v3, vcc_lo
	v_cmp_eq_u32_e32 vcc_lo, 0x40f, v6
	v_cndmask_b32_e32 v2, v3, v2, vcc_lo
	v_lshrrev_b32_e32 v3, 16, v1
	v_and_or_b32 v2, 0x8000, v3, v2
	v_and_b32_e32 v2, 0xffff, v2
	global_store_dword v[4:5], v2, off
.LBB7_1876:
	s_mov_b32 s5, 0
.LBB7_1877:
	s_andn2_b32 vcc_lo, exec_lo, s5
	s_cbranch_vccnz .LBB7_1886
; %bb.1878:
	s_cmp_lt_i32 s4, 6
	s_mov_b32 s5, -1
	s_cbranch_scc1 .LBB7_1884
; %bb.1879:
	s_cmp_gt_i32 s4, 6
	s_cbranch_scc0 .LBB7_1881
; %bb.1880:
	s_mov_b32 s5, 0
	global_store_dwordx2 v[4:5], v[0:1], off
.LBB7_1881:
	s_andn2_b32 vcc_lo, exec_lo, s5
	s_cbranch_vccnz .LBB7_1883
; %bb.1882:
	v_cvt_f32_f64_e32 v2, v[0:1]
	global_store_dword v[4:5], v2, off
.LBB7_1883:
	s_mov_b32 s5, 0
.LBB7_1884:
	s_andn2_b32 vcc_lo, exec_lo, s5
	s_cbranch_vccnz .LBB7_1886
; %bb.1885:
	v_and_or_b32 v2, 0x1ff, v1, v0
	v_lshrrev_b32_e32 v3, 8, v1
	v_bfe_u32 v6, v1, 20, 11
	v_cmp_ne_u32_e32 vcc_lo, 0, v2
	v_sub_nc_u32_e32 v7, 0x3f1, v6
	v_add_nc_u32_e32 v6, 0xfffffc10, v6
	v_cndmask_b32_e64 v2, 0, 1, vcc_lo
	v_and_or_b32 v2, 0xffe, v3, v2
	v_med3_i32 v3, v7, 0, 13
	v_or_b32_e32 v7, 0x1000, v2
	v_lshrrev_b32_e32 v8, v3, v7
	v_lshlrev_b32_e32 v3, v3, v8
	v_cmp_ne_u32_e32 vcc_lo, v3, v7
	v_lshl_or_b32 v7, v6, 12, v2
	v_cndmask_b32_e64 v3, 0, 1, vcc_lo
	v_cmp_gt_i32_e32 vcc_lo, 1, v6
	v_or_b32_e32 v3, v8, v3
	v_cndmask_b32_e32 v3, v7, v3, vcc_lo
	v_and_b32_e32 v7, 7, v3
	v_lshrrev_b32_e32 v3, 2, v3
	v_cmp_lt_i32_e32 vcc_lo, 5, v7
	v_cndmask_b32_e64 v8, 0, 1, vcc_lo
	v_cmp_eq_u32_e32 vcc_lo, 3, v7
	v_cndmask_b32_e64 v7, 0, 1, vcc_lo
	v_cmp_ne_u32_e32 vcc_lo, 0, v2
	v_or_b32_e32 v7, v7, v8
	v_mov_b32_e32 v8, 0x7e00
	v_add_nc_u32_e32 v3, v3, v7
	v_cndmask_b32_e32 v2, 0x7c00, v8, vcc_lo
	v_cmp_gt_i32_e32 vcc_lo, 31, v6
	v_cndmask_b32_e32 v3, 0x7c00, v3, vcc_lo
	v_cmp_eq_u32_e32 vcc_lo, 0x40f, v6
	v_cndmask_b32_e32 v2, v3, v2, vcc_lo
	v_lshrrev_b32_e32 v3, 16, v1
	v_and_or_b32 v2, 0x8000, v3, v2
	global_store_short v[4:5], v2, off
.LBB7_1886:
	s_mov_b32 s5, 0
.LBB7_1887:
	s_andn2_b32 vcc_lo, exec_lo, s5
	s_cbranch_vccnz .LBB7_1903
; %bb.1888:
	s_cmp_lt_i32 s4, 2
	s_mov_b32 s5, -1
	s_cbranch_scc1 .LBB7_1898
; %bb.1889:
	s_cmp_lt_i32 s4, 3
	s_cbranch_scc1 .LBB7_1895
; %bb.1890:
	s_cmp_gt_i32 s4, 3
	s_cbranch_scc0 .LBB7_1892
; %bb.1891:
	v_trunc_f64_e32 v[2:3], v[0:1]
	s_mov_b32 s5, 0
	v_ldexp_f64 v[6:7], v[2:3], 0xffffffe0
	v_floor_f64_e32 v[6:7], v[6:7]
	v_fma_f64 v[2:3], 0xc1f00000, v[6:7], v[2:3]
	v_cvt_i32_f64_e32 v7, v[6:7]
	v_cvt_u32_f64_e32 v6, v[2:3]
	global_store_dwordx2 v[4:5], v[6:7], off
.LBB7_1892:
	s_andn2_b32 vcc_lo, exec_lo, s5
	s_cbranch_vccnz .LBB7_1894
; %bb.1893:
	v_cvt_i32_f64_e32 v2, v[0:1]
	global_store_dword v[4:5], v2, off
.LBB7_1894:
	s_mov_b32 s5, 0
.LBB7_1895:
	s_andn2_b32 vcc_lo, exec_lo, s5
	s_cbranch_vccnz .LBB7_1897
; %bb.1896:
	v_cvt_i32_f64_e32 v2, v[0:1]
	global_store_short v[4:5], v2, off
.LBB7_1897:
	s_mov_b32 s5, 0
.LBB7_1898:
	s_andn2_b32 vcc_lo, exec_lo, s5
	s_cbranch_vccnz .LBB7_1903
; %bb.1899:
	s_cmp_gt_i32 s4, 0
	s_mov_b32 s4, -1
	s_cbranch_scc0 .LBB7_1901
; %bb.1900:
	v_cvt_i32_f64_e32 v2, v[0:1]
	s_mov_b32 s4, 0
	global_store_byte v[4:5], v2, off
.LBB7_1901:
	s_andn2_b32 vcc_lo, exec_lo, s4
	s_cbranch_vccnz .LBB7_1903
; %bb.1902:
	v_trunc_f64_e32 v[0:1], v[0:1]
	v_ldexp_f64 v[2:3], v[0:1], 0xffffffe0
	v_floor_f64_e32 v[2:3], v[2:3]
	v_fma_f64 v[0:1], 0xc1f00000, v[2:3], v[0:1]
	v_cvt_u32_f64_e32 v0, v[0:1]
	global_store_byte v[4:5], v0, off
.LBB7_1903:
	s_mov_b32 s7, -1
.LBB7_1904:
	s_andn2_b32 vcc_lo, exec_lo, s7
	s_cbranch_vccnz .LBB7_1981
; %bb.1905:
	v_mov_b32_e32 v0, v40
	v_mov_b32_e32 v1, v41
	s_getpc_b64 s[4:5]
	s_add_u32 s4, s4, _ZZZZN2at6native12_GLOBAL__N_121bessel_j1_kernel_cudaERNS_18TensorIteratorBaseEENKUlvE_clEvENKUlvE_clEvENKUldE_clEd@rel32@lo+4
	s_addc_u32 s5, s5, _ZZZZN2at6native12_GLOBAL__N_121bessel_j1_kernel_cudaERNS_18TensorIteratorBaseEENKUlvE_clEvENKUlvE_clEvENKUldE_clEd@rel32@hi+12
	s_swappc_b64 s[30:31], s[4:5]
	v_add_nc_u32_e32 v2, s26, v42
	s_cmp_lt_i32 s40, 11
	v_ashrrev_i32_e32 v3, 31, v2
	v_add_co_u32 v4, vcc_lo, s36, v2
	v_add_co_ci_u32_e64 v5, null, s37, v3, vcc_lo
	s_cbranch_scc1 .LBB7_2026
; %bb.1906:
	s_and_b32 s5, 0xffff, s40
	s_mov_b32 s7, -1
	s_mov_b32 s6, 0
	s_cmp_gt_i32 s5, 25
	s_mov_b32 s4, 0
	s_cbranch_scc0 .LBB7_1939
; %bb.1907:
	s_cmp_gt_i32 s5, 28
	s_cbranch_scc0 .LBB7_1923
; %bb.1908:
	s_cmp_gt_i32 s5, 43
	;; [unrolled: 3-line block ×3, first 2 shown]
	s_cbranch_scc0 .LBB7_1913
; %bb.1910:
	s_cmp_eq_u32 s5, 46
	s_mov_b32 s4, -1
	s_cbranch_scc0 .LBB7_1912
; %bb.1911:
	v_cvt_f32_f64_e32 v2, v[0:1]
	s_mov_b32 s4, 0
	v_bfe_u32 v3, v2, 16, 1
	v_cmp_o_f32_e32 vcc_lo, v2, v2
	v_add3_u32 v2, v2, v3, 0x7fff
	v_mov_b32_e32 v3, 0x7fc0
	v_cndmask_b32_sdwa v2, v3, v2, vcc_lo dst_sel:DWORD dst_unused:UNUSED_PAD src0_sel:DWORD src1_sel:WORD_1
	global_store_dword v[4:5], v2, off
.LBB7_1912:
	s_mov_b32 s7, 0
.LBB7_1913:
	s_and_b32 vcc_lo, exec_lo, s7
	s_cbranch_vccz .LBB7_1918
; %bb.1914:
	s_cmp_eq_u32 s5, 44
	s_mov_b32 s4, -1
	s_cbranch_scc0 .LBB7_1918
; %bb.1915:
	v_cvt_f32_f64_e32 v2, v[0:1]
	v_mov_b32_e32 v3, 0xff
	s_mov_b32 s7, exec_lo
	v_bfe_u32 v6, v2, 23, 8
	v_cmpx_ne_u32_e32 0xff, v6
	s_cbranch_execz .LBB7_1917
; %bb.1916:
	v_and_b32_e32 v3, 0x400000, v2
	v_and_or_b32 v6, 0x3fffff, v2, v6
	v_lshrrev_b32_e32 v2, 23, v2
	v_cmp_ne_u32_e32 vcc_lo, 0, v3
	v_cmp_ne_u32_e64 s4, 0, v6
	s_and_b32 s4, vcc_lo, s4
	v_cndmask_b32_e64 v3, 0, 1, s4
	v_add_nc_u32_e32 v3, v2, v3
.LBB7_1917:
	s_or_b32 exec_lo, exec_lo, s7
	s_mov_b32 s4, 0
	global_store_byte v[4:5], v3, off
.LBB7_1918:
	s_mov_b32 s7, 0
.LBB7_1919:
	s_and_b32 vcc_lo, exec_lo, s7
	s_cbranch_vccz .LBB7_1922
; %bb.1920:
	s_cmp_eq_u32 s5, 29
	s_mov_b32 s4, -1
	s_cbranch_scc0 .LBB7_1922
; %bb.1921:
	v_trunc_f64_e32 v[2:3], v[0:1]
	s_mov_b32 s4, 0
	v_ldexp_f64 v[6:7], v[2:3], 0xffffffe0
	v_floor_f64_e32 v[6:7], v[6:7]
	v_fma_f64 v[2:3], 0xc1f00000, v[6:7], v[2:3]
	v_cvt_u32_f64_e32 v7, v[6:7]
	v_cvt_u32_f64_e32 v6, v[2:3]
	global_store_dwordx2 v[4:5], v[6:7], off
.LBB7_1922:
	s_mov_b32 s7, 0
.LBB7_1923:
	s_and_b32 vcc_lo, exec_lo, s7
	s_cbranch_vccz .LBB7_1938
; %bb.1924:
	s_cmp_lt_i32 s5, 27
	s_mov_b32 s7, -1
	s_cbranch_scc1 .LBB7_1930
; %bb.1925:
	v_cvt_u32_f64_e32 v2, v[0:1]
	s_cmp_gt_i32 s5, 27
	s_cbranch_scc0 .LBB7_1927
; %bb.1926:
	s_mov_b32 s7, 0
	global_store_dword v[4:5], v2, off
.LBB7_1927:
	s_andn2_b32 vcc_lo, exec_lo, s7
	s_cbranch_vccnz .LBB7_1929
; %bb.1928:
	global_store_short v[4:5], v2, off
.LBB7_1929:
	s_mov_b32 s7, 0
.LBB7_1930:
	s_andn2_b32 vcc_lo, exec_lo, s7
	s_cbranch_vccnz .LBB7_1938
; %bb.1931:
	v_cvt_f32_f64_e32 v2, v[0:1]
	v_mov_b32_e32 v6, 0x80
	s_mov_b32 s7, exec_lo
	v_and_b32_e32 v3, 0x7fffffff, v2
	v_cmpx_gt_u32_e32 0x43800000, v3
	s_cbranch_execz .LBB7_1937
; %bb.1932:
	v_cmp_lt_u32_e32 vcc_lo, 0x3bffffff, v3
	s_mov_b32 s8, 0
                                        ; implicit-def: $vgpr3
	s_and_saveexec_b32 s9, vcc_lo
	s_xor_b32 s9, exec_lo, s9
	s_cbranch_execz .LBB7_2043
; %bb.1933:
	v_bfe_u32 v3, v2, 20, 1
	s_mov_b32 s8, exec_lo
	v_add3_u32 v3, v2, v3, 0x487ffff
	v_lshrrev_b32_e32 v3, 20, v3
	s_andn2_saveexec_b32 s9, s9
	s_cbranch_execnz .LBB7_2044
.LBB7_1934:
	s_or_b32 exec_lo, exec_lo, s9
	v_mov_b32_e32 v6, 0
	s_and_saveexec_b32 s9, s8
.LBB7_1935:
	v_lshrrev_b32_e32 v2, 24, v2
	v_and_or_b32 v6, 0x80, v2, v3
.LBB7_1936:
	s_or_b32 exec_lo, exec_lo, s9
.LBB7_1937:
	s_or_b32 exec_lo, exec_lo, s7
	global_store_byte v[4:5], v6, off
.LBB7_1938:
	s_mov_b32 s7, 0
.LBB7_1939:
	s_and_b32 vcc_lo, exec_lo, s7
	s_cbranch_vccz .LBB7_1979
; %bb.1940:
	s_cmp_gt_i32 s5, 22
	s_mov_b32 s6, -1
	s_cbranch_scc0 .LBB7_1972
; %bb.1941:
	s_cmp_lt_i32 s5, 24
	s_cbranch_scc1 .LBB7_1961
; %bb.1942:
	s_cmp_gt_i32 s5, 24
	s_cbranch_scc0 .LBB7_1950
; %bb.1943:
	v_cvt_f32_f64_e32 v2, v[0:1]
	v_mov_b32_e32 v6, 0x80
	s_mov_b32 s6, exec_lo
	v_and_b32_e32 v3, 0x7fffffff, v2
	v_cmpx_gt_u32_e32 0x47800000, v3
	s_cbranch_execz .LBB7_1949
; %bb.1944:
	v_cmp_lt_u32_e32 vcc_lo, 0x37ffffff, v3
	s_mov_b32 s7, 0
                                        ; implicit-def: $vgpr3
	s_and_saveexec_b32 s8, vcc_lo
	s_xor_b32 s8, exec_lo, s8
	s_cbranch_execz .LBB7_2046
; %bb.1945:
	v_bfe_u32 v3, v2, 21, 1
	s_mov_b32 s7, exec_lo
	v_add3_u32 v3, v2, v3, 0x88fffff
	v_lshrrev_b32_e32 v3, 21, v3
	s_andn2_saveexec_b32 s8, s8
	s_cbranch_execnz .LBB7_2047
.LBB7_1946:
	s_or_b32 exec_lo, exec_lo, s8
	v_mov_b32_e32 v6, 0
	s_and_saveexec_b32 s8, s7
.LBB7_1947:
	v_lshrrev_b32_e32 v2, 24, v2
	v_and_or_b32 v6, 0x80, v2, v3
.LBB7_1948:
	s_or_b32 exec_lo, exec_lo, s8
.LBB7_1949:
	s_or_b32 exec_lo, exec_lo, s6
	s_mov_b32 s6, 0
	global_store_byte v[4:5], v6, off
.LBB7_1950:
	s_and_b32 vcc_lo, exec_lo, s6
	s_cbranch_vccz .LBB7_1960
; %bb.1951:
	v_cvt_f32_f64_e32 v2, v[0:1]
	s_mov_b32 s6, exec_lo
                                        ; implicit-def: $vgpr3
	v_and_b32_e32 v6, 0x7fffffff, v2
	v_cmpx_gt_u32_e32 0x43f00000, v6
	s_xor_b32 s6, exec_lo, s6
	s_cbranch_execz .LBB7_1957
; %bb.1952:
	s_mov_b32 s7, exec_lo
                                        ; implicit-def: $vgpr3
	v_cmpx_lt_u32_e32 0x3c7fffff, v6
	s_xor_b32 s7, exec_lo, s7
; %bb.1953:
	v_bfe_u32 v3, v2, 20, 1
	v_add3_u32 v3, v2, v3, 0x407ffff
	v_and_b32_e32 v6, 0xff00000, v3
	v_lshrrev_b32_e32 v3, 20, v3
	v_cmp_ne_u32_e32 vcc_lo, 0x7f00000, v6
	v_cndmask_b32_e32 v3, 0x7e, v3, vcc_lo
; %bb.1954:
	s_andn2_saveexec_b32 s7, s7
; %bb.1955:
	v_add_f32_e64 v3, 0x46800000, |v2|
; %bb.1956:
	s_or_b32 exec_lo, exec_lo, s7
                                        ; implicit-def: $vgpr6
.LBB7_1957:
	s_andn2_saveexec_b32 s6, s6
; %bb.1958:
	v_mov_b32_e32 v3, 0x7f
	v_cmp_lt_u32_e32 vcc_lo, 0x7f800000, v6
	v_cndmask_b32_e32 v3, 0x7e, v3, vcc_lo
; %bb.1959:
	s_or_b32 exec_lo, exec_lo, s6
	v_lshrrev_b32_e32 v2, 24, v2
	v_and_or_b32 v2, 0x80, v2, v3
	global_store_byte v[4:5], v2, off
.LBB7_1960:
	s_mov_b32 s6, 0
.LBB7_1961:
	s_andn2_b32 vcc_lo, exec_lo, s6
	s_cbranch_vccnz .LBB7_1971
; %bb.1962:
	v_cvt_f32_f64_e32 v2, v[0:1]
	s_mov_b32 s6, exec_lo
                                        ; implicit-def: $vgpr3
	v_and_b32_e32 v6, 0x7fffffff, v2
	v_cmpx_gt_u32_e32 0x47800000, v6
	s_xor_b32 s6, exec_lo, s6
	s_cbranch_execz .LBB7_1968
; %bb.1963:
	s_mov_b32 s7, exec_lo
                                        ; implicit-def: $vgpr3
	v_cmpx_lt_u32_e32 0x387fffff, v6
	s_xor_b32 s7, exec_lo, s7
; %bb.1964:
	v_bfe_u32 v3, v2, 21, 1
	v_add3_u32 v3, v2, v3, 0x80fffff
	v_lshrrev_b32_e32 v3, 21, v3
; %bb.1965:
	s_andn2_saveexec_b32 s7, s7
; %bb.1966:
	v_add_f32_e64 v3, 0x43000000, |v2|
; %bb.1967:
	s_or_b32 exec_lo, exec_lo, s7
                                        ; implicit-def: $vgpr6
.LBB7_1968:
	s_andn2_saveexec_b32 s6, s6
; %bb.1969:
	v_mov_b32_e32 v3, 0x7f
	v_cmp_lt_u32_e32 vcc_lo, 0x7f800000, v6
	v_cndmask_b32_e32 v3, 0x7c, v3, vcc_lo
; %bb.1970:
	s_or_b32 exec_lo, exec_lo, s6
	v_lshrrev_b32_e32 v2, 24, v2
	v_and_or_b32 v2, 0x80, v2, v3
	global_store_byte v[4:5], v2, off
.LBB7_1971:
	s_mov_b32 s6, 0
.LBB7_1972:
	s_andn2_b32 vcc_lo, exec_lo, s6
	s_mov_b32 s6, 0
	s_cbranch_vccnz .LBB7_1979
; %bb.1973:
	s_cmp_gt_i32 s5, 14
	s_mov_b32 s6, -1
	s_cbranch_scc0 .LBB7_1977
; %bb.1974:
	s_cmp_eq_u32 s5, 15
	s_mov_b32 s4, -1
	s_cbranch_scc0 .LBB7_1976
; %bb.1975:
	v_cvt_f32_f64_e32 v2, v[0:1]
	s_mov_b32 s4, 0
	v_bfe_u32 v3, v2, 16, 1
	v_cmp_o_f32_e32 vcc_lo, v2, v2
	v_add3_u32 v2, v2, v3, 0x7fff
	v_mov_b32_e32 v3, 0x7fc0
	v_cndmask_b32_sdwa v2, v3, v2, vcc_lo dst_sel:DWORD dst_unused:UNUSED_PAD src0_sel:DWORD src1_sel:WORD_1
	global_store_short v[4:5], v2, off
.LBB7_1976:
	s_mov_b32 s6, 0
.LBB7_1977:
	s_and_b32 vcc_lo, exec_lo, s6
	s_mov_b32 s6, 0
	s_cbranch_vccz .LBB7_1979
; %bb.1978:
	s_cmp_lg_u32 s5, 11
	s_mov_b32 s6, -1
	s_cselect_b32 s4, -1, 0
.LBB7_1979:
	s_and_b32 vcc_lo, exec_lo, s4
	s_cbranch_vccnz .LBB7_2045
.LBB7_1980:
	s_mov_b32 s4, 0
	s_branch .LBB7_1982
.LBB7_1981:
	s_mov_b32 s4, 0
	s_mov_b32 s6, 0
                                        ; implicit-def: $sgpr40
                                        ; implicit-def: $vgpr4_vgpr5
                                        ; implicit-def: $vgpr0_vgpr1
.LBB7_1982:
	s_andn2_b32 s5, s35, exec_lo
	s_and_b32 s7, s29, exec_lo
	s_and_b32 s4, s4, exec_lo
	;; [unrolled: 1-line block ×3, first 2 shown]
	s_or_b32 s35, s5, s7
.LBB7_1983:
	s_or_b32 exec_lo, exec_lo, s34
	s_and_saveexec_b32 s5, s35
	s_cbranch_execz .LBB7_1986
; %bb.1984:
	; divergent unreachable
	s_or_b32 exec_lo, exec_lo, s5
	s_and_saveexec_b32 s5, s29
	s_xor_b32 s5, exec_lo, s5
	s_cbranch_execnz .LBB7_1987
.LBB7_1985:
	s_or_b32 exec_lo, exec_lo, s5
	s_and_saveexec_b32 s5, s4
	s_cbranch_execnz .LBB7_1988
	s_branch .LBB7_2025
.LBB7_1986:
	s_or_b32 exec_lo, exec_lo, s5
	s_and_saveexec_b32 s5, s29
	s_xor_b32 s5, exec_lo, s5
	s_cbranch_execz .LBB7_1985
.LBB7_1987:
	s_waitcnt vmcnt(0)
	v_cmp_neq_f64_e32 vcc_lo, 0, v[0:1]
	v_cndmask_b32_e64 v2, 0, 1, vcc_lo
	global_store_byte v[4:5], v2, off
	s_or_b32 exec_lo, exec_lo, s5
	s_and_saveexec_b32 s5, s4
	s_cbranch_execz .LBB7_2025
.LBB7_1988:
	s_sext_i32_i16 s5, s40
	s_mov_b32 s4, -1
	s_cmp_lt_i32 s5, 5
	s_cbranch_scc1 .LBB7_2009
; %bb.1989:
	s_cmp_lt_i32 s5, 8
	s_cbranch_scc1 .LBB7_1999
; %bb.1990:
	s_cmp_lt_i32 s5, 9
	s_cbranch_scc1 .LBB7_1996
; %bb.1991:
	s_cmp_gt_i32 s5, 9
	s_cbranch_scc0 .LBB7_1993
; %bb.1992:
	s_waitcnt vmcnt(0)
	v_mov_b32_e32 v2, 0
	s_mov_b32 s4, 0
	v_mov_b32_e32 v3, v2
	global_store_dwordx4 v[4:5], v[0:3], off
.LBB7_1993:
	s_andn2_b32 vcc_lo, exec_lo, s4
	s_cbranch_vccnz .LBB7_1995
; %bb.1994:
	s_waitcnt vmcnt(0)
	v_cvt_f32_f64_e32 v2, v[0:1]
	v_mov_b32_e32 v3, 0
	global_store_dwordx2 v[4:5], v[2:3], off
.LBB7_1995:
	s_mov_b32 s4, 0
.LBB7_1996:
	s_andn2_b32 vcc_lo, exec_lo, s4
	s_cbranch_vccnz .LBB7_1998
; %bb.1997:
	s_waitcnt vmcnt(0)
	v_and_or_b32 v2, 0x1ff, v1, v0
	v_lshrrev_b32_e32 v3, 8, v1
	v_bfe_u32 v6, v1, 20, 11
	v_cmp_ne_u32_e32 vcc_lo, 0, v2
	v_sub_nc_u32_e32 v7, 0x3f1, v6
	v_add_nc_u32_e32 v6, 0xfffffc10, v6
	v_cndmask_b32_e64 v2, 0, 1, vcc_lo
	v_and_or_b32 v2, 0xffe, v3, v2
	v_med3_i32 v3, v7, 0, 13
	v_or_b32_e32 v7, 0x1000, v2
	v_lshrrev_b32_e32 v8, v3, v7
	v_lshlrev_b32_e32 v3, v3, v8
	v_cmp_ne_u32_e32 vcc_lo, v3, v7
	v_lshl_or_b32 v7, v6, 12, v2
	v_cndmask_b32_e64 v3, 0, 1, vcc_lo
	v_cmp_gt_i32_e32 vcc_lo, 1, v6
	v_or_b32_e32 v3, v8, v3
	v_cndmask_b32_e32 v3, v7, v3, vcc_lo
	v_and_b32_e32 v7, 7, v3
	v_lshrrev_b32_e32 v3, 2, v3
	v_cmp_lt_i32_e32 vcc_lo, 5, v7
	v_cndmask_b32_e64 v8, 0, 1, vcc_lo
	v_cmp_eq_u32_e32 vcc_lo, 3, v7
	v_cndmask_b32_e64 v7, 0, 1, vcc_lo
	v_cmp_ne_u32_e32 vcc_lo, 0, v2
	v_or_b32_e32 v7, v7, v8
	v_mov_b32_e32 v8, 0x7e00
	v_add_nc_u32_e32 v3, v3, v7
	v_cndmask_b32_e32 v2, 0x7c00, v8, vcc_lo
	v_cmp_gt_i32_e32 vcc_lo, 31, v6
	v_cndmask_b32_e32 v3, 0x7c00, v3, vcc_lo
	v_cmp_eq_u32_e32 vcc_lo, 0x40f, v6
	v_cndmask_b32_e32 v2, v3, v2, vcc_lo
	v_lshrrev_b32_e32 v3, 16, v1
	v_and_or_b32 v2, 0x8000, v3, v2
	v_and_b32_e32 v2, 0xffff, v2
	global_store_dword v[4:5], v2, off
.LBB7_1998:
	s_mov_b32 s4, 0
.LBB7_1999:
	s_andn2_b32 vcc_lo, exec_lo, s4
	s_cbranch_vccnz .LBB7_2008
; %bb.2000:
	s_sext_i32_i16 s5, s40
	s_mov_b32 s4, -1
	s_cmp_lt_i32 s5, 6
	s_cbranch_scc1 .LBB7_2006
; %bb.2001:
	s_cmp_gt_i32 s5, 6
	s_cbranch_scc0 .LBB7_2003
; %bb.2002:
	s_mov_b32 s4, 0
	s_waitcnt vmcnt(0)
	global_store_dwordx2 v[4:5], v[0:1], off
.LBB7_2003:
	s_andn2_b32 vcc_lo, exec_lo, s4
	s_cbranch_vccnz .LBB7_2005
; %bb.2004:
	s_waitcnt vmcnt(0)
	v_cvt_f32_f64_e32 v2, v[0:1]
	global_store_dword v[4:5], v2, off
.LBB7_2005:
	s_mov_b32 s4, 0
.LBB7_2006:
	s_andn2_b32 vcc_lo, exec_lo, s4
	s_cbranch_vccnz .LBB7_2008
; %bb.2007:
	s_waitcnt vmcnt(0)
	v_and_or_b32 v2, 0x1ff, v1, v0
	v_lshrrev_b32_e32 v3, 8, v1
	v_bfe_u32 v6, v1, 20, 11
	v_cmp_ne_u32_e32 vcc_lo, 0, v2
	v_sub_nc_u32_e32 v7, 0x3f1, v6
	v_add_nc_u32_e32 v6, 0xfffffc10, v6
	v_cndmask_b32_e64 v2, 0, 1, vcc_lo
	v_and_or_b32 v2, 0xffe, v3, v2
	v_med3_i32 v3, v7, 0, 13
	v_or_b32_e32 v7, 0x1000, v2
	v_lshrrev_b32_e32 v8, v3, v7
	v_lshlrev_b32_e32 v3, v3, v8
	v_cmp_ne_u32_e32 vcc_lo, v3, v7
	v_lshl_or_b32 v7, v6, 12, v2
	v_cndmask_b32_e64 v3, 0, 1, vcc_lo
	v_cmp_gt_i32_e32 vcc_lo, 1, v6
	v_or_b32_e32 v3, v8, v3
	v_cndmask_b32_e32 v3, v7, v3, vcc_lo
	v_and_b32_e32 v7, 7, v3
	v_lshrrev_b32_e32 v3, 2, v3
	v_cmp_lt_i32_e32 vcc_lo, 5, v7
	v_cndmask_b32_e64 v8, 0, 1, vcc_lo
	v_cmp_eq_u32_e32 vcc_lo, 3, v7
	v_cndmask_b32_e64 v7, 0, 1, vcc_lo
	v_cmp_ne_u32_e32 vcc_lo, 0, v2
	v_or_b32_e32 v7, v7, v8
	v_mov_b32_e32 v8, 0x7e00
	v_add_nc_u32_e32 v3, v3, v7
	v_cndmask_b32_e32 v2, 0x7c00, v8, vcc_lo
	v_cmp_gt_i32_e32 vcc_lo, 31, v6
	v_cndmask_b32_e32 v3, 0x7c00, v3, vcc_lo
	v_cmp_eq_u32_e32 vcc_lo, 0x40f, v6
	v_cndmask_b32_e32 v2, v3, v2, vcc_lo
	v_lshrrev_b32_e32 v3, 16, v1
	v_and_or_b32 v2, 0x8000, v3, v2
	global_store_short v[4:5], v2, off
.LBB7_2008:
	s_mov_b32 s4, 0
.LBB7_2009:
	s_andn2_b32 vcc_lo, exec_lo, s4
	s_cbranch_vccnz .LBB7_2025
; %bb.2010:
	s_sext_i32_i16 s5, s40
	s_mov_b32 s4, -1
	s_cmp_lt_i32 s5, 2
	s_cbranch_scc1 .LBB7_2020
; %bb.2011:
	s_cmp_lt_i32 s5, 3
	s_cbranch_scc1 .LBB7_2017
; %bb.2012:
	s_cmp_gt_i32 s5, 3
	s_cbranch_scc0 .LBB7_2014
; %bb.2013:
	s_waitcnt vmcnt(0)
	v_trunc_f64_e32 v[2:3], v[0:1]
	s_mov_b32 s4, 0
	v_ldexp_f64 v[6:7], v[2:3], 0xffffffe0
	v_floor_f64_e32 v[6:7], v[6:7]
	v_fma_f64 v[2:3], 0xc1f00000, v[6:7], v[2:3]
	v_cvt_i32_f64_e32 v7, v[6:7]
	v_cvt_u32_f64_e32 v6, v[2:3]
	global_store_dwordx2 v[4:5], v[6:7], off
.LBB7_2014:
	s_andn2_b32 vcc_lo, exec_lo, s4
	s_cbranch_vccnz .LBB7_2016
; %bb.2015:
	s_waitcnt vmcnt(0)
	v_cvt_i32_f64_e32 v2, v[0:1]
	global_store_dword v[4:5], v2, off
.LBB7_2016:
	s_mov_b32 s4, 0
.LBB7_2017:
	s_andn2_b32 vcc_lo, exec_lo, s4
	s_cbranch_vccnz .LBB7_2019
; %bb.2018:
	s_waitcnt vmcnt(0)
	v_cvt_i32_f64_e32 v2, v[0:1]
	global_store_short v[4:5], v2, off
.LBB7_2019:
	s_mov_b32 s4, 0
.LBB7_2020:
	s_andn2_b32 vcc_lo, exec_lo, s4
	s_cbranch_vccnz .LBB7_2025
; %bb.2021:
	s_sext_i32_i16 s4, s40
	s_cmp_gt_i32 s4, 0
	s_mov_b32 s4, -1
	s_cbranch_scc0 .LBB7_2023
; %bb.2022:
	s_waitcnt vmcnt(0)
	v_cvt_i32_f64_e32 v2, v[0:1]
	s_mov_b32 s4, 0
	global_store_byte v[4:5], v2, off
.LBB7_2023:
	s_andn2_b32 vcc_lo, exec_lo, s4
	s_cbranch_vccnz .LBB7_2025
; %bb.2024:
	s_waitcnt vmcnt(0)
	v_trunc_f64_e32 v[0:1], v[0:1]
	v_ldexp_f64 v[2:3], v[0:1], 0xffffffe0
	v_floor_f64_e32 v[2:3], v[2:3]
	v_fma_f64 v[0:1], 0xc1f00000, v[2:3], v[0:1]
	v_cvt_u32_f64_e32 v0, v[0:1]
	global_store_byte v[4:5], v0, off
	s_endpgm
.LBB7_2025:
	s_endpgm
.LBB7_2026:
	s_mov_b32 s6, 0
	s_mov_b32 s4, -1
	s_branch .LBB7_1982
.LBB7_2027:
	s_or_b32 s29, s29, exec_lo
	s_trap 2
	s_cbranch_execz .LBB7_1496
	s_branch .LBB7_1497
.LBB7_2028:
	s_andn2_saveexec_b32 s9, s9
	s_cbranch_execz .LBB7_1576
.LBB7_2029:
	v_add_f32_e64 v3, 0x46000000, |v2|
	s_andn2_b32 s8, s8, exec_lo
	v_and_b32_e32 v3, 0xff, v3
	v_cmp_ne_u32_e32 vcc_lo, 0, v3
	s_and_b32 s10, vcc_lo, exec_lo
	s_or_b32 s8, s8, s10
	s_or_b32 exec_lo, exec_lo, s9
	v_mov_b32_e32 v6, 0
	s_and_saveexec_b32 s9, s8
	s_cbranch_execnz .LBB7_1577
	s_branch .LBB7_1578
.LBB7_2030:
	s_or_b32 s29, s29, exec_lo
	s_trap 2
	s_cbranch_execz .LBB7_1624
	s_branch .LBB7_1625
.LBB7_2031:
	s_andn2_saveexec_b32 s8, s8
	s_cbranch_execz .LBB7_1589
.LBB7_2032:
	v_add_f32_e64 v3, 0x42800000, |v2|
	s_andn2_b32 s7, s7, exec_lo
	v_and_b32_e32 v3, 0xff, v3
	v_cmp_ne_u32_e32 vcc_lo, 0, v3
	s_and_b32 s9, vcc_lo, exec_lo
	s_or_b32 s7, s7, s9
	s_or_b32 exec_lo, exec_lo, s8
	v_mov_b32_e32 v6, 0
	s_and_saveexec_b32 s8, s7
	s_cbranch_execnz .LBB7_1590
	s_branch .LBB7_1591
.LBB7_2033:
	s_andn2_saveexec_b32 s9, s9
	s_cbranch_execz .LBB7_1695
.LBB7_2034:
	v_add_f32_e64 v3, 0x46000000, |v2|
	s_andn2_b32 s8, s8, exec_lo
	v_and_b32_e32 v3, 0xff, v3
	v_cmp_ne_u32_e32 vcc_lo, 0, v3
	s_and_b32 s10, vcc_lo, exec_lo
	s_or_b32 s8, s8, s10
	s_or_b32 exec_lo, exec_lo, s9
	v_mov_b32_e32 v6, 0
	s_and_saveexec_b32 s9, s8
	s_cbranch_execnz .LBB7_1696
	s_branch .LBB7_1697
.LBB7_2035:
	s_or_b32 s29, s29, exec_lo
	s_trap 2
	s_cbranch_execz .LBB7_1743
	s_branch .LBB7_1744
.LBB7_2036:
	s_andn2_saveexec_b32 s8, s8
	s_cbranch_execz .LBB7_1708
.LBB7_2037:
	v_add_f32_e64 v3, 0x42800000, |v2|
	s_andn2_b32 s7, s7, exec_lo
	v_and_b32_e32 v3, 0xff, v3
	v_cmp_ne_u32_e32 vcc_lo, 0, v3
	s_and_b32 s9, vcc_lo, exec_lo
	s_or_b32 s7, s7, s9
	s_or_b32 exec_lo, exec_lo, s8
	v_mov_b32_e32 v6, 0
	s_and_saveexec_b32 s8, s7
	s_cbranch_execnz .LBB7_1709
	s_branch .LBB7_1710
.LBB7_2038:
	s_andn2_saveexec_b32 s9, s9
	s_cbranch_execz .LBB7_1814
.LBB7_2039:
	v_add_f32_e64 v3, 0x46000000, |v2|
	s_andn2_b32 s8, s8, exec_lo
	v_and_b32_e32 v3, 0xff, v3
	v_cmp_ne_u32_e32 vcc_lo, 0, v3
	s_and_b32 s10, vcc_lo, exec_lo
	s_or_b32 s8, s8, s10
	s_or_b32 exec_lo, exec_lo, s9
	v_mov_b32_e32 v6, 0
	s_and_saveexec_b32 s9, s8
	s_cbranch_execnz .LBB7_1815
	s_branch .LBB7_1816
.LBB7_2040:
	s_or_b32 s29, s29, exec_lo
	s_trap 2
	s_cbranch_execz .LBB7_1862
	s_branch .LBB7_1863
.LBB7_2041:
	s_andn2_saveexec_b32 s8, s8
	s_cbranch_execz .LBB7_1827
.LBB7_2042:
	v_add_f32_e64 v3, 0x42800000, |v2|
	s_andn2_b32 s7, s7, exec_lo
	v_and_b32_e32 v3, 0xff, v3
	v_cmp_ne_u32_e32 vcc_lo, 0, v3
	s_and_b32 s9, vcc_lo, exec_lo
	s_or_b32 s7, s7, s9
	s_or_b32 exec_lo, exec_lo, s8
	v_mov_b32_e32 v6, 0
	s_and_saveexec_b32 s8, s7
	s_cbranch_execnz .LBB7_1828
	s_branch .LBB7_1829
.LBB7_2043:
	s_andn2_saveexec_b32 s9, s9
	s_cbranch_execz .LBB7_1934
.LBB7_2044:
	v_add_f32_e64 v3, 0x46000000, |v2|
	s_andn2_b32 s8, s8, exec_lo
	v_and_b32_e32 v3, 0xff, v3
	v_cmp_ne_u32_e32 vcc_lo, 0, v3
	s_and_b32 s10, vcc_lo, exec_lo
	s_or_b32 s8, s8, s10
	s_or_b32 exec_lo, exec_lo, s9
	v_mov_b32_e32 v6, 0
	s_and_saveexec_b32 s9, s8
	s_cbranch_execnz .LBB7_1935
	s_branch .LBB7_1936
.LBB7_2045:
	s_mov_b32 s6, 0
	s_or_b32 s29, s29, exec_lo
	s_trap 2
	s_branch .LBB7_1980
.LBB7_2046:
	s_andn2_saveexec_b32 s8, s8
	s_cbranch_execz .LBB7_1946
.LBB7_2047:
	v_add_f32_e64 v3, 0x42800000, |v2|
	s_andn2_b32 s7, s7, exec_lo
	v_and_b32_e32 v3, 0xff, v3
	v_cmp_ne_u32_e32 vcc_lo, 0, v3
	s_and_b32 s9, vcc_lo, exec_lo
	s_or_b32 s7, s7, s9
	s_or_b32 exec_lo, exec_lo, s8
	v_mov_b32_e32 v6, 0
	s_and_saveexec_b32 s8, s7
	s_cbranch_execnz .LBB7_1947
	s_branch .LBB7_1948
	.section	.rodata,"a",@progbits
	.p2align	6, 0x0
	.amdhsa_kernel _ZN2at6native32elementwise_kernel_manual_unrollILi128ELi4EZNS0_15gpu_kernel_implIZZZNS0_12_GLOBAL__N_121bessel_j1_kernel_cudaERNS_18TensorIteratorBaseEENKUlvE_clEvENKUlvE_clEvEUldE_EEvS5_RKT_EUlibE_EEviT1_
		.amdhsa_group_segment_fixed_size 0
		.amdhsa_private_segment_fixed_size 0
		.amdhsa_kernarg_size 40
		.amdhsa_user_sgpr_count 6
		.amdhsa_user_sgpr_private_segment_buffer 1
		.amdhsa_user_sgpr_dispatch_ptr 0
		.amdhsa_user_sgpr_queue_ptr 0
		.amdhsa_user_sgpr_kernarg_segment_ptr 1
		.amdhsa_user_sgpr_dispatch_id 0
		.amdhsa_user_sgpr_flat_scratch_init 0
		.amdhsa_user_sgpr_private_segment_size 0
		.amdhsa_wavefront_size32 1
		.amdhsa_uses_dynamic_stack 0
		.amdhsa_system_sgpr_private_segment_wavefront_offset 0
		.amdhsa_system_sgpr_workgroup_id_x 1
		.amdhsa_system_sgpr_workgroup_id_y 0
		.amdhsa_system_sgpr_workgroup_id_z 0
		.amdhsa_system_sgpr_workgroup_info 0
		.amdhsa_system_vgpr_workitem_id 0
		.amdhsa_next_free_vgpr 84
		.amdhsa_next_free_sgpr 48
		.amdhsa_reserve_vcc 1
		.amdhsa_reserve_flat_scratch 0
		.amdhsa_float_round_mode_32 0
		.amdhsa_float_round_mode_16_64 0
		.amdhsa_float_denorm_mode_32 3
		.amdhsa_float_denorm_mode_16_64 3
		.amdhsa_dx10_clamp 1
		.amdhsa_ieee_mode 1
		.amdhsa_fp16_overflow 0
		.amdhsa_workgroup_processor_mode 1
		.amdhsa_memory_ordered 1
		.amdhsa_forward_progress 1
		.amdhsa_shared_vgpr_count 0
		.amdhsa_exception_fp_ieee_invalid_op 0
		.amdhsa_exception_fp_denorm_src 0
		.amdhsa_exception_fp_ieee_div_zero 0
		.amdhsa_exception_fp_ieee_overflow 0
		.amdhsa_exception_fp_ieee_underflow 0
		.amdhsa_exception_fp_ieee_inexact 0
		.amdhsa_exception_int_div_zero 0
	.end_amdhsa_kernel
	.section	.text._ZN2at6native32elementwise_kernel_manual_unrollILi128ELi4EZNS0_15gpu_kernel_implIZZZNS0_12_GLOBAL__N_121bessel_j1_kernel_cudaERNS_18TensorIteratorBaseEENKUlvE_clEvENKUlvE_clEvEUldE_EEvS5_RKT_EUlibE_EEviT1_,"axG",@progbits,_ZN2at6native32elementwise_kernel_manual_unrollILi128ELi4EZNS0_15gpu_kernel_implIZZZNS0_12_GLOBAL__N_121bessel_j1_kernel_cudaERNS_18TensorIteratorBaseEENKUlvE_clEvENKUlvE_clEvEUldE_EEvS5_RKT_EUlibE_EEviT1_,comdat
.Lfunc_end7:
	.size	_ZN2at6native32elementwise_kernel_manual_unrollILi128ELi4EZNS0_15gpu_kernel_implIZZZNS0_12_GLOBAL__N_121bessel_j1_kernel_cudaERNS_18TensorIteratorBaseEENKUlvE_clEvENKUlvE_clEvEUldE_EEvS5_RKT_EUlibE_EEviT1_, .Lfunc_end7-_ZN2at6native32elementwise_kernel_manual_unrollILi128ELi4EZNS0_15gpu_kernel_implIZZZNS0_12_GLOBAL__N_121bessel_j1_kernel_cudaERNS_18TensorIteratorBaseEENKUlvE_clEvENKUlvE_clEvEUldE_EEvS5_RKT_EUlibE_EEviT1_
                                        ; -- End function
	.set _ZN2at6native32elementwise_kernel_manual_unrollILi128ELi4EZNS0_15gpu_kernel_implIZZZNS0_12_GLOBAL__N_121bessel_j1_kernel_cudaERNS_18TensorIteratorBaseEENKUlvE_clEvENKUlvE_clEvEUldE_EEvS5_RKT_EUlibE_EEviT1_.num_vgpr, max(47, .L_ZZZZN2at6native12_GLOBAL__N_121bessel_j1_kernel_cudaERNS_18TensorIteratorBaseEENKUlvE_clEvENKUlvE_clEvENKUldE_clEd.num_vgpr)
	.set _ZN2at6native32elementwise_kernel_manual_unrollILi128ELi4EZNS0_15gpu_kernel_implIZZZNS0_12_GLOBAL__N_121bessel_j1_kernel_cudaERNS_18TensorIteratorBaseEENKUlvE_clEvENKUlvE_clEvEUldE_EEvS5_RKT_EUlibE_EEviT1_.num_agpr, max(0, .L_ZZZZN2at6native12_GLOBAL__N_121bessel_j1_kernel_cudaERNS_18TensorIteratorBaseEENKUlvE_clEvENKUlvE_clEvENKUldE_clEd.num_agpr)
	.set _ZN2at6native32elementwise_kernel_manual_unrollILi128ELi4EZNS0_15gpu_kernel_implIZZZNS0_12_GLOBAL__N_121bessel_j1_kernel_cudaERNS_18TensorIteratorBaseEENKUlvE_clEvENKUlvE_clEvEUldE_EEvS5_RKT_EUlibE_EEviT1_.numbered_sgpr, max(48, .L_ZZZZN2at6native12_GLOBAL__N_121bessel_j1_kernel_cudaERNS_18TensorIteratorBaseEENKUlvE_clEvENKUlvE_clEvENKUldE_clEd.numbered_sgpr)
	.set _ZN2at6native32elementwise_kernel_manual_unrollILi128ELi4EZNS0_15gpu_kernel_implIZZZNS0_12_GLOBAL__N_121bessel_j1_kernel_cudaERNS_18TensorIteratorBaseEENKUlvE_clEvENKUlvE_clEvEUldE_EEvS5_RKT_EUlibE_EEviT1_.num_named_barrier, max(0, .L_ZZZZN2at6native12_GLOBAL__N_121bessel_j1_kernel_cudaERNS_18TensorIteratorBaseEENKUlvE_clEvENKUlvE_clEvENKUldE_clEd.num_named_barrier)
	.set _ZN2at6native32elementwise_kernel_manual_unrollILi128ELi4EZNS0_15gpu_kernel_implIZZZNS0_12_GLOBAL__N_121bessel_j1_kernel_cudaERNS_18TensorIteratorBaseEENKUlvE_clEvENKUlvE_clEvEUldE_EEvS5_RKT_EUlibE_EEviT1_.private_seg_size, 0+max(.L_ZZZZN2at6native12_GLOBAL__N_121bessel_j1_kernel_cudaERNS_18TensorIteratorBaseEENKUlvE_clEvENKUlvE_clEvENKUldE_clEd.private_seg_size)
	.set _ZN2at6native32elementwise_kernel_manual_unrollILi128ELi4EZNS0_15gpu_kernel_implIZZZNS0_12_GLOBAL__N_121bessel_j1_kernel_cudaERNS_18TensorIteratorBaseEENKUlvE_clEvENKUlvE_clEvEUldE_EEvS5_RKT_EUlibE_EEviT1_.uses_vcc, or(1, .L_ZZZZN2at6native12_GLOBAL__N_121bessel_j1_kernel_cudaERNS_18TensorIteratorBaseEENKUlvE_clEvENKUlvE_clEvENKUldE_clEd.uses_vcc)
	.set _ZN2at6native32elementwise_kernel_manual_unrollILi128ELi4EZNS0_15gpu_kernel_implIZZZNS0_12_GLOBAL__N_121bessel_j1_kernel_cudaERNS_18TensorIteratorBaseEENKUlvE_clEvENKUlvE_clEvEUldE_EEvS5_RKT_EUlibE_EEviT1_.uses_flat_scratch, or(0, .L_ZZZZN2at6native12_GLOBAL__N_121bessel_j1_kernel_cudaERNS_18TensorIteratorBaseEENKUlvE_clEvENKUlvE_clEvENKUldE_clEd.uses_flat_scratch)
	.set _ZN2at6native32elementwise_kernel_manual_unrollILi128ELi4EZNS0_15gpu_kernel_implIZZZNS0_12_GLOBAL__N_121bessel_j1_kernel_cudaERNS_18TensorIteratorBaseEENKUlvE_clEvENKUlvE_clEvEUldE_EEvS5_RKT_EUlibE_EEviT1_.has_dyn_sized_stack, or(0, .L_ZZZZN2at6native12_GLOBAL__N_121bessel_j1_kernel_cudaERNS_18TensorIteratorBaseEENKUlvE_clEvENKUlvE_clEvENKUldE_clEd.has_dyn_sized_stack)
	.set _ZN2at6native32elementwise_kernel_manual_unrollILi128ELi4EZNS0_15gpu_kernel_implIZZZNS0_12_GLOBAL__N_121bessel_j1_kernel_cudaERNS_18TensorIteratorBaseEENKUlvE_clEvENKUlvE_clEvEUldE_EEvS5_RKT_EUlibE_EEviT1_.has_recursion, or(0, .L_ZZZZN2at6native12_GLOBAL__N_121bessel_j1_kernel_cudaERNS_18TensorIteratorBaseEENKUlvE_clEvENKUlvE_clEvENKUldE_clEd.has_recursion)
	.set _ZN2at6native32elementwise_kernel_manual_unrollILi128ELi4EZNS0_15gpu_kernel_implIZZZNS0_12_GLOBAL__N_121bessel_j1_kernel_cudaERNS_18TensorIteratorBaseEENKUlvE_clEvENKUlvE_clEvEUldE_EEvS5_RKT_EUlibE_EEviT1_.has_indirect_call, or(0, .L_ZZZZN2at6native12_GLOBAL__N_121bessel_j1_kernel_cudaERNS_18TensorIteratorBaseEENKUlvE_clEvENKUlvE_clEvENKUldE_clEd.has_indirect_call)
	.section	.AMDGPU.csdata,"",@progbits
; Kernel info:
; codeLenInByte = 34716
; TotalNumSgprs: 50
; NumVgprs: 84
; ScratchSize: 0
; MemoryBound: 1
; FloatMode: 240
; IeeeMode: 1
; LDSByteSize: 0 bytes/workgroup (compile time only)
; SGPRBlocks: 0
; VGPRBlocks: 10
; NumSGPRsForWavesPerEU: 50
; NumVGPRsForWavesPerEU: 84
; Occupancy: 10
; WaveLimiterHint : 0
; COMPUTE_PGM_RSRC2:SCRATCH_EN: 0
; COMPUTE_PGM_RSRC2:USER_SGPR: 6
; COMPUTE_PGM_RSRC2:TRAP_HANDLER: 0
; COMPUTE_PGM_RSRC2:TGID_X_EN: 1
; COMPUTE_PGM_RSRC2:TGID_Y_EN: 0
; COMPUTE_PGM_RSRC2:TGID_Z_EN: 0
; COMPUTE_PGM_RSRC2:TIDIG_COMP_CNT: 0
	.section	.text._ZN2at6native32elementwise_kernel_manual_unrollILi128ELi4EZNS0_15gpu_kernel_implIZZZNS0_12_GLOBAL__N_121bessel_j1_kernel_cudaERNS_18TensorIteratorBaseEENKUlvE_clEvENKUlvE_clEvEUldE_EEvS5_RKT_EUlibE0_EEviT1_,"axG",@progbits,_ZN2at6native32elementwise_kernel_manual_unrollILi128ELi4EZNS0_15gpu_kernel_implIZZZNS0_12_GLOBAL__N_121bessel_j1_kernel_cudaERNS_18TensorIteratorBaseEENKUlvE_clEvENKUlvE_clEvEUldE_EEvS5_RKT_EUlibE0_EEviT1_,comdat
	.globl	_ZN2at6native32elementwise_kernel_manual_unrollILi128ELi4EZNS0_15gpu_kernel_implIZZZNS0_12_GLOBAL__N_121bessel_j1_kernel_cudaERNS_18TensorIteratorBaseEENKUlvE_clEvENKUlvE_clEvEUldE_EEvS5_RKT_EUlibE0_EEviT1_ ; -- Begin function _ZN2at6native32elementwise_kernel_manual_unrollILi128ELi4EZNS0_15gpu_kernel_implIZZZNS0_12_GLOBAL__N_121bessel_j1_kernel_cudaERNS_18TensorIteratorBaseEENKUlvE_clEvENKUlvE_clEvEUldE_EEvS5_RKT_EUlibE0_EEviT1_
	.p2align	8
	.type	_ZN2at6native32elementwise_kernel_manual_unrollILi128ELi4EZNS0_15gpu_kernel_implIZZZNS0_12_GLOBAL__N_121bessel_j1_kernel_cudaERNS_18TensorIteratorBaseEENKUlvE_clEvENKUlvE_clEvEUldE_EEvS5_RKT_EUlibE0_EEviT1_,@function
_ZN2at6native32elementwise_kernel_manual_unrollILi128ELi4EZNS0_15gpu_kernel_implIZZZNS0_12_GLOBAL__N_121bessel_j1_kernel_cudaERNS_18TensorIteratorBaseEENKUlvE_clEvENKUlvE_clEvEUldE_EEvS5_RKT_EUlibE0_EEviT1_: ; @_ZN2at6native32elementwise_kernel_manual_unrollILi128ELi4EZNS0_15gpu_kernel_implIZZZNS0_12_GLOBAL__N_121bessel_j1_kernel_cudaERNS_18TensorIteratorBaseEENKUlvE_clEvENKUlvE_clEvEUldE_EEvS5_RKT_EUlibE0_EEviT1_
; %bb.0:
	s_clause 0x1
	s_load_dword s33, s[4:5], 0x8
	s_load_dword s57, s[4:5], 0x0
	v_lshl_or_b32 v42, s6, 9, v0
	s_add_u32 s0, s0, s7
	s_mov_b64 s[26:27], s[4:5]
	s_addc_u32 s1, s1, 0
	s_add_u32 s28, s26, 8
	s_addc_u32 s29, s27, 0
	v_or_b32_e32 v8, 0x180, v42
	s_mov_b32 s5, -1
	s_mov_b32 s51, 0
	s_mov_b32 s34, 0
	s_mov_b32 s32, 0
	s_mov_b32 s4, exec_lo
	s_waitcnt lgkmcnt(0)
	s_add_i32 s50, s33, -1
	s_cmp_gt_u32 s50, 1
	s_cselect_b32 s52, -1, 0
	v_cmpx_le_i32_e64 s57, v8
	s_xor_b32 s53, exec_lo, s4
	s_cbranch_execz .LBB8_1089
; %bb.1:
	v_mov_b32_e32 v0, 0
	s_clause 0x3
	s_load_dwordx4 s[44:47], s[28:29], 0x4
	s_load_dwordx2 s[34:35], s[28:29], 0x14
	s_load_dwordx4 s[40:43], s[28:29], 0xc4
	s_load_dwordx4 s[36:39], s[28:29], 0x148
	s_cmp_lg_u32 s33, 0
	s_mov_b32 s63, 0
	s_cselect_b32 s58, -1, 0
	global_load_ushort v0, v0, s[28:29] offset:345
	s_add_u32 s48, s28, 0xc4
	s_addc_u32 s49, s29, 0
	s_min_u32 s59, s50, 15
	s_cmp_gt_u32 s33, 1
	s_mov_b32 s61, 0
	s_cselect_b32 s56, -1, 0
	s_mov_b32 s60, 0
	s_mov_b32 s62, exec_lo
	s_waitcnt vmcnt(0)
	v_readfirstlane_b32 s54, v0
	s_and_b32 s4, 0xffff, s54
	s_lshr_b32 s55, s4, 8
	v_cmpx_gt_i32_e64 s57, v42
	s_cbranch_execz .LBB8_266
; %bb.2:
	s_andn2_b32 vcc_lo, exec_lo, s52
	s_cbranch_vccnz .LBB8_7
; %bb.3:
	s_andn2_b32 vcc_lo, exec_lo, s58
	s_cbranch_vccnz .LBB8_8
; %bb.4:
	s_add_i32 s9, s59, 1
	s_cmp_eq_u32 s50, 2
	s_cbranch_scc1 .LBB8_9
; %bb.5:
	v_mov_b32_e32 v0, 0
	v_mov_b32_e32 v40, 0
	;; [unrolled: 1-line block ×3, first 2 shown]
	s_and_b32 s8, s9, 28
	s_mov_b32 s10, 0
	s_mov_b64 s[4:5], s[28:29]
	s_mov_b64 s[6:7], s[48:49]
.LBB8_6:                                ; =>This Inner Loop Header: Depth=1
	s_clause 0x1
	s_load_dwordx8 s[12:19], s[4:5], 0x4
	s_load_dwordx4 s[20:23], s[4:5], 0x24
	s_load_dwordx8 s[64:71], s[6:7], 0x0
	s_add_u32 s4, s4, 48
	s_addc_u32 s5, s5, 0
	s_add_i32 s10, s10, 4
	s_add_u32 s6, s6, 32
	s_addc_u32 s7, s7, 0
	s_cmp_lg_u32 s8, s10
	s_waitcnt lgkmcnt(0)
	v_mul_hi_u32 v2, s13, v1
	v_add_nc_u32_e32 v2, v1, v2
	v_lshrrev_b32_e32 v2, s14, v2
	v_mul_hi_u32 v3, s16, v2
	v_mul_lo_u32 v5, v2, s12
	v_add_nc_u32_e32 v3, v2, v3
	v_sub_nc_u32_e32 v1, v1, v5
	v_lshrrev_b32_e32 v3, s17, v3
	v_mul_lo_u32 v5, v1, s64
	v_mul_lo_u32 v7, v1, s65
	v_mul_hi_u32 v4, s19, v3
	v_add_nc_u32_e32 v4, v3, v4
	v_lshrrev_b32_e32 v4, s20, v4
	v_mul_hi_u32 v6, s22, v4
	v_mul_lo_u32 v8, v4, s18
	v_add_nc_u32_e32 v1, v4, v6
	v_mul_lo_u32 v6, v3, s15
	v_sub_nc_u32_e32 v3, v3, v8
	v_lshrrev_b32_e32 v1, s23, v1
	v_mul_lo_u32 v8, v3, s68
	v_mul_lo_u32 v3, v3, s69
	v_sub_nc_u32_e32 v2, v2, v6
	v_mul_lo_u32 v9, v1, s21
	v_mul_lo_u32 v6, v2, s66
	;; [unrolled: 1-line block ×3, first 2 shown]
	v_sub_nc_u32_e32 v4, v4, v9
	v_add3_u32 v5, v5, v40, v6
	v_mul_lo_u32 v9, v4, s70
	v_mul_lo_u32 v4, v4, s71
	v_add3_u32 v0, v7, v0, v2
	v_add3_u32 v40, v8, v5, v9
	;; [unrolled: 1-line block ×3, first 2 shown]
	s_cbranch_scc1 .LBB8_6
	s_branch .LBB8_10
.LBB8_7:
                                        ; implicit-def: $vgpr40
                                        ; implicit-def: $vgpr0
	s_branch .LBB8_14
.LBB8_8:
	v_mov_b32_e32 v40, 0
	v_mov_b32_e32 v0, 0
	s_branch .LBB8_13
.LBB8_9:
	v_mov_b32_e32 v40, 0
	v_mov_b32_e32 v0, 0
	;; [unrolled: 1-line block ×3, first 2 shown]
	s_mov_b32 s8, 0
.LBB8_10:
	s_and_b32 s9, s9, 3
	s_cmp_eq_u32 s9, 0
	s_cbranch_scc1 .LBB8_13
; %bb.11:
	s_lshl_b32 s4, s8, 3
	s_mul_i32 s6, s8, 12
	s_add_u32 s4, s28, s4
	s_addc_u32 s5, s29, 0
	s_add_u32 s4, s4, 0xc4
	s_addc_u32 s5, s5, 0
	;; [unrolled: 2-line block ×3, first 2 shown]
	.p2align	6
.LBB8_12:                               ; =>This Inner Loop Header: Depth=1
	s_clause 0x1
	s_load_dwordx2 s[10:11], s[6:7], 0x4
	s_load_dword s8, s[6:7], 0xc
	s_load_dwordx2 s[12:13], s[4:5], 0x0
	s_add_u32 s6, s6, 12
	s_addc_u32 s7, s7, 0
	s_add_u32 s4, s4, 8
	s_addc_u32 s5, s5, 0
	s_add_i32 s9, s9, -1
	s_cmp_lg_u32 s9, 0
	s_waitcnt lgkmcnt(0)
	v_mul_hi_u32 v2, s11, v1
	v_add_nc_u32_e32 v2, v1, v2
	v_lshrrev_b32_e32 v2, s8, v2
	v_mul_lo_u32 v3, v2, s10
	v_sub_nc_u32_e32 v1, v1, v3
	v_mad_u64_u32 v[40:41], null, v1, s12, v[40:41]
	v_mad_u64_u32 v[0:1], null, v1, s13, v[0:1]
	v_mov_b32_e32 v1, v2
	s_cbranch_scc1 .LBB8_12
.LBB8_13:
	s_cbranch_execnz .LBB8_16
.LBB8_14:
	s_waitcnt lgkmcnt(0)
	v_mul_hi_u32 v0, s45, v42
	s_andn2_b32 vcc_lo, exec_lo, s56
	v_add_nc_u32_e32 v0, v42, v0
	v_lshrrev_b32_e32 v1, s46, v0
	v_mul_lo_u32 v0, v1, s44
	v_sub_nc_u32_e32 v0, v42, v0
	v_mul_lo_u32 v40, v0, s40
	v_mul_lo_u32 v0, v0, s41
	s_cbranch_vccnz .LBB8_16
; %bb.15:
	v_mul_hi_u32 v2, s34, v1
	v_add_nc_u32_e32 v2, v1, v2
	v_lshrrev_b32_e32 v2, s35, v2
	v_mul_lo_u32 v2, v2, s47
	v_sub_nc_u32_e32 v1, v1, v2
	v_mad_u64_u32 v[40:41], null, v1, s42, v[40:41]
	v_mad_u64_u32 v[0:1], null, v1, s43, v[0:1]
.LBB8_16:
	s_waitcnt lgkmcnt(0)
	v_add_co_u32 v2, s4, s38, v0
	v_add_co_ci_u32_e64 v3, null, s39, 0, s4
	s_and_b32 s4, 0xffff, s55
	s_cmp_lt_i32 s4, 11
	s_cbranch_scc1 .LBB8_23
; %bb.17:
	s_cmp_gt_i32 s4, 25
	s_cbranch_scc0 .LBB8_32
; %bb.18:
	s_cmp_gt_i32 s4, 28
	s_cbranch_scc0 .LBB8_35
; %bb.19:
	s_cmp_gt_i32 s4, 43
	s_cbranch_scc0 .LBB8_37
; %bb.20:
	s_cmp_gt_i32 s4, 45
	s_cbranch_scc0 .LBB8_39
; %bb.21:
	s_cmp_eq_u32 s4, 46
	s_mov_b32 s6, 0
	s_cbranch_scc0 .LBB8_41
; %bb.22:
	global_load_dword v0, v[2:3], off
	s_mov_b32 s5, -1
	s_mov_b32 s61, 0
	s_waitcnt vmcnt(0)
	v_lshlrev_b32_e32 v0, 16, v0
	v_cvt_f64_f32_e32 v[0:1], v0
	s_branch .LBB8_43
.LBB8_23:
	s_mov_b32 s61, 0
	s_mov_b32 s5, 0
                                        ; implicit-def: $vgpr0_vgpr1
	s_cbranch_execnz .LBB8_216
.LBB8_24:
	s_andn2_b32 vcc_lo, exec_lo, s5
	s_cbranch_vccnz .LBB8_263
.LBB8_25:
	s_getpc_b64 s[4:5]
	s_add_u32 s4, s4, _ZZZZN2at6native12_GLOBAL__N_121bessel_j1_kernel_cudaERNS_18TensorIteratorBaseEENKUlvE_clEvENKUlvE_clEvENKUldE_clEd@rel32@lo+4
	s_addc_u32 s5, s5, _ZZZZN2at6native12_GLOBAL__N_121bessel_j1_kernel_cudaERNS_18TensorIteratorBaseEENKUlvE_clEvENKUlvE_clEvENKUldE_clEd@rel32@hi+12
	s_swappc_b64 s[30:31], s[4:5]
	v_add_co_u32 v4, s4, s36, v40
	v_add_co_ci_u32_e64 v5, null, s37, 0, s4
	s_and_b32 s5, s54, 0xff
	s_cmp_lt_i32 s5, 11
	s_cbranch_scc1 .LBB8_33
; %bb.26:
	s_and_b32 s6, 0xffff, s5
	s_cmp_gt_i32 s6, 25
	s_cbranch_scc0 .LBB8_36
; %bb.27:
	s_cmp_gt_i32 s6, 28
	s_cbranch_scc0 .LBB8_38
; %bb.28:
	;; [unrolled: 3-line block ×4, first 2 shown]
	s_mov_b32 s8, 0
	s_mov_b32 s4, -1
	s_cmp_eq_u32 s6, 46
	s_mov_b32 s7, 0
	s_cbranch_scc0 .LBB8_47
; %bb.31:
	v_cvt_f32_f64_e32 v2, v[0:1]
	s_mov_b32 s7, -1
	s_mov_b32 s4, 0
	v_bfe_u32 v3, v2, 16, 1
	v_cmp_o_f32_e32 vcc_lo, v2, v2
	v_add3_u32 v2, v2, v3, 0x7fff
	v_mov_b32_e32 v3, 0x7fc0
	v_cndmask_b32_sdwa v2, v3, v2, vcc_lo dst_sel:DWORD dst_unused:UNUSED_PAD src0_sel:DWORD src1_sel:WORD_1
	global_store_dword v[4:5], v2, off
	s_branch .LBB8_47
.LBB8_32:
	s_mov_b32 s61, 0
	s_mov_b32 s5, 0
                                        ; implicit-def: $vgpr0_vgpr1
	s_cbranch_execnz .LBB8_183
	s_branch .LBB8_215
.LBB8_33:
	s_mov_b32 s4, 0
	s_mov_b32 s7, 0
	s_cbranch_execnz .LBB8_116
.LBB8_34:
	s_andn2_b32 vcc_lo, exec_lo, s7
	s_cbranch_vccz .LBB8_154
	s_branch .LBB8_264
.LBB8_35:
	s_mov_b32 s6, -1
	s_mov_b32 s61, 0
	s_mov_b32 s5, 0
                                        ; implicit-def: $vgpr0_vgpr1
	s_branch .LBB8_162
.LBB8_36:
	s_mov_b32 s8, -1
	s_mov_b32 s4, 0
	s_mov_b32 s7, 0
	s_branch .LBB8_74
.LBB8_37:
	s_mov_b32 s6, -1
	s_mov_b32 s61, 0
	s_mov_b32 s5, 0
                                        ; implicit-def: $vgpr0_vgpr1
	s_branch .LBB8_157
.LBB8_38:
	s_mov_b32 s8, -1
	s_mov_b32 s4, 0
	s_mov_b32 s7, 0
	s_branch .LBB8_57
.LBB8_39:
	s_mov_b32 s6, -1
	s_mov_b32 s61, 0
	s_branch .LBB8_42
.LBB8_40:
	s_mov_b32 s8, -1
	s_mov_b32 s4, 0
	s_mov_b32 s7, 0
	s_branch .LBB8_53
.LBB8_41:
	s_mov_b32 s61, -1
.LBB8_42:
	s_mov_b32 s5, 0
                                        ; implicit-def: $vgpr0_vgpr1
.LBB8_43:
	s_and_b32 vcc_lo, exec_lo, s6
	s_cbranch_vccz .LBB8_156
; %bb.44:
	s_cmp_eq_u32 s4, 44
	s_cbranch_scc0 .LBB8_155
; %bb.45:
	global_load_ubyte v4, v[2:3], off
	s_mov_b32 s61, 0
	s_mov_b32 s5, -1
	s_waitcnt vmcnt(0)
	v_lshlrev_b32_e32 v0, 23, v4
	v_cmp_ne_u32_e32 vcc_lo, 0xff, v4
	v_cvt_f64_f32_e32 v[0:1], v0
	v_cndmask_b32_e32 v0, 0x20000000, v0, vcc_lo
	v_cndmask_b32_e32 v1, 0x7ff80000, v1, vcc_lo
	v_cmp_ne_u32_e32 vcc_lo, 0, v4
	v_cndmask_b32_e32 v1, 0x38000000, v1, vcc_lo
	v_cndmask_b32_e32 v0, 0, v0, vcc_lo
	s_branch .LBB8_156
.LBB8_46:
	s_mov_b32 s8, -1
	s_mov_b32 s4, 0
	s_mov_b32 s7, 0
.LBB8_47:
	s_and_b32 vcc_lo, exec_lo, s8
	s_cbranch_vccz .LBB8_52
; %bb.48:
	s_cmp_eq_u32 s6, 44
	s_mov_b32 s4, -1
	s_cbranch_scc0 .LBB8_52
; %bb.49:
	v_cvt_f32_f64_e32 v2, v[0:1]
	v_mov_b32_e32 v3, 0xff
	s_mov_b32 s7, exec_lo
	v_bfe_u32 v6, v2, 23, 8
	v_cmpx_ne_u32_e32 0xff, v6
	s_cbranch_execz .LBB8_51
; %bb.50:
	v_and_b32_e32 v3, 0x400000, v2
	v_and_or_b32 v6, 0x3fffff, v2, v6
	v_lshrrev_b32_e32 v2, 23, v2
	v_cmp_ne_u32_e32 vcc_lo, 0, v3
	v_cmp_ne_u32_e64 s4, 0, v6
	s_and_b32 s4, vcc_lo, s4
	v_cndmask_b32_e64 v3, 0, 1, s4
	v_add_nc_u32_e32 v3, v2, v3
.LBB8_51:
	s_or_b32 exec_lo, exec_lo, s7
	s_mov_b32 s7, -1
	s_mov_b32 s4, 0
	global_store_byte v[4:5], v3, off
.LBB8_52:
	s_mov_b32 s8, 0
.LBB8_53:
	s_and_b32 vcc_lo, exec_lo, s8
	s_cbranch_vccz .LBB8_56
; %bb.54:
	s_cmp_eq_u32 s6, 29
	s_mov_b32 s4, -1
	s_cbranch_scc0 .LBB8_56
; %bb.55:
	v_trunc_f64_e32 v[2:3], v[0:1]
	s_mov_b32 s7, -1
	s_mov_b32 s4, 0
	s_mov_b32 s8, 0
	v_ldexp_f64 v[6:7], v[2:3], 0xffffffe0
	v_floor_f64_e32 v[6:7], v[6:7]
	v_fma_f64 v[2:3], 0xc1f00000, v[6:7], v[2:3]
	v_cvt_u32_f64_e32 v7, v[6:7]
	v_cvt_u32_f64_e32 v6, v[2:3]
	global_store_dwordx2 v[4:5], v[6:7], off
	s_branch .LBB8_57
.LBB8_56:
	s_mov_b32 s8, 0
.LBB8_57:
	s_and_b32 vcc_lo, exec_lo, s8
	s_cbranch_vccz .LBB8_73
; %bb.58:
	s_cmp_lt_i32 s6, 27
	s_mov_b32 s7, -1
	s_cbranch_scc1 .LBB8_64
; %bb.59:
	v_cvt_u32_f64_e32 v2, v[0:1]
	s_cmp_gt_i32 s6, 27
	s_cbranch_scc0 .LBB8_61
; %bb.60:
	s_mov_b32 s7, 0
	global_store_dword v[4:5], v2, off
.LBB8_61:
	s_andn2_b32 vcc_lo, exec_lo, s7
	s_cbranch_vccnz .LBB8_63
; %bb.62:
	global_store_short v[4:5], v2, off
.LBB8_63:
	s_mov_b32 s7, 0
.LBB8_64:
	s_andn2_b32 vcc_lo, exec_lo, s7
	s_cbranch_vccnz .LBB8_72
; %bb.65:
	v_cvt_f32_f64_e32 v2, v[0:1]
	v_mov_b32_e32 v6, 0x80
	s_mov_b32 s7, exec_lo
	v_and_b32_e32 v3, 0x7fffffff, v2
	v_cmpx_gt_u32_e32 0x43800000, v3
	s_cbranch_execz .LBB8_71
; %bb.66:
	v_cmp_lt_u32_e32 vcc_lo, 0x3bffffff, v3
	s_mov_b32 s8, 0
                                        ; implicit-def: $vgpr3
	s_and_saveexec_b32 s9, vcc_lo
	s_xor_b32 s9, exec_lo, s9
	s_cbranch_execz .LBB8_307
; %bb.67:
	v_bfe_u32 v3, v2, 20, 1
	s_mov_b32 s8, exec_lo
	v_add3_u32 v3, v2, v3, 0x487ffff
	v_lshrrev_b32_e32 v3, 20, v3
	s_andn2_saveexec_b32 s9, s9
	s_cbranch_execnz .LBB8_308
.LBB8_68:
	s_or_b32 exec_lo, exec_lo, s9
	v_mov_b32_e32 v6, 0
	s_and_saveexec_b32 s9, s8
.LBB8_69:
	v_lshrrev_b32_e32 v2, 24, v2
	v_and_or_b32 v6, 0x80, v2, v3
.LBB8_70:
	s_or_b32 exec_lo, exec_lo, s9
.LBB8_71:
	s_or_b32 exec_lo, exec_lo, s7
	global_store_byte v[4:5], v6, off
.LBB8_72:
	s_mov_b32 s7, -1
.LBB8_73:
	s_mov_b32 s8, 0
.LBB8_74:
	s_and_b32 vcc_lo, exec_lo, s8
	s_cbranch_vccz .LBB8_115
; %bb.75:
	s_cmp_gt_i32 s6, 22
	s_mov_b32 s8, -1
	s_cbranch_scc0 .LBB8_107
; %bb.76:
	s_cmp_lt_i32 s6, 24
	s_mov_b32 s7, -1
	s_cbranch_scc1 .LBB8_96
; %bb.77:
	s_cmp_gt_i32 s6, 24
	s_cbranch_scc0 .LBB8_85
; %bb.78:
	v_cvt_f32_f64_e32 v2, v[0:1]
	v_mov_b32_e32 v6, 0x80
	s_mov_b32 s7, exec_lo
	v_and_b32_e32 v3, 0x7fffffff, v2
	v_cmpx_gt_u32_e32 0x47800000, v3
	s_cbranch_execz .LBB8_84
; %bb.79:
	v_cmp_lt_u32_e32 vcc_lo, 0x37ffffff, v3
	s_mov_b32 s8, 0
                                        ; implicit-def: $vgpr3
	s_and_saveexec_b32 s9, vcc_lo
	s_xor_b32 s9, exec_lo, s9
	s_cbranch_execz .LBB8_311
; %bb.80:
	v_bfe_u32 v3, v2, 21, 1
	s_mov_b32 s8, exec_lo
	v_add3_u32 v3, v2, v3, 0x88fffff
	v_lshrrev_b32_e32 v3, 21, v3
	s_andn2_saveexec_b32 s9, s9
	s_cbranch_execnz .LBB8_312
.LBB8_81:
	s_or_b32 exec_lo, exec_lo, s9
	v_mov_b32_e32 v6, 0
	s_and_saveexec_b32 s9, s8
.LBB8_82:
	v_lshrrev_b32_e32 v2, 24, v2
	v_and_or_b32 v6, 0x80, v2, v3
.LBB8_83:
	s_or_b32 exec_lo, exec_lo, s9
.LBB8_84:
	s_or_b32 exec_lo, exec_lo, s7
	s_mov_b32 s7, 0
	global_store_byte v[4:5], v6, off
.LBB8_85:
	s_and_b32 vcc_lo, exec_lo, s7
	s_cbranch_vccz .LBB8_95
; %bb.86:
	v_cvt_f32_f64_e32 v2, v[0:1]
	s_mov_b32 s7, exec_lo
                                        ; implicit-def: $vgpr3
	v_and_b32_e32 v6, 0x7fffffff, v2
	v_cmpx_gt_u32_e32 0x43f00000, v6
	s_xor_b32 s7, exec_lo, s7
	s_cbranch_execz .LBB8_92
; %bb.87:
	s_mov_b32 s8, exec_lo
                                        ; implicit-def: $vgpr3
	v_cmpx_lt_u32_e32 0x3c7fffff, v6
	s_xor_b32 s8, exec_lo, s8
; %bb.88:
	v_bfe_u32 v3, v2, 20, 1
	v_add3_u32 v3, v2, v3, 0x407ffff
	v_and_b32_e32 v6, 0xff00000, v3
	v_lshrrev_b32_e32 v3, 20, v3
	v_cmp_ne_u32_e32 vcc_lo, 0x7f00000, v6
	v_cndmask_b32_e32 v3, 0x7e, v3, vcc_lo
; %bb.89:
	s_andn2_saveexec_b32 s8, s8
; %bb.90:
	v_add_f32_e64 v3, 0x46800000, |v2|
; %bb.91:
	s_or_b32 exec_lo, exec_lo, s8
                                        ; implicit-def: $vgpr6
.LBB8_92:
	s_andn2_saveexec_b32 s7, s7
; %bb.93:
	v_mov_b32_e32 v3, 0x7f
	v_cmp_lt_u32_e32 vcc_lo, 0x7f800000, v6
	v_cndmask_b32_e32 v3, 0x7e, v3, vcc_lo
; %bb.94:
	s_or_b32 exec_lo, exec_lo, s7
	v_lshrrev_b32_e32 v2, 24, v2
	v_and_or_b32 v2, 0x80, v2, v3
	global_store_byte v[4:5], v2, off
.LBB8_95:
	s_mov_b32 s7, 0
.LBB8_96:
	s_andn2_b32 vcc_lo, exec_lo, s7
	s_cbranch_vccnz .LBB8_106
; %bb.97:
	v_cvt_f32_f64_e32 v2, v[0:1]
	s_mov_b32 s7, exec_lo
                                        ; implicit-def: $vgpr3
	v_and_b32_e32 v6, 0x7fffffff, v2
	v_cmpx_gt_u32_e32 0x47800000, v6
	s_xor_b32 s7, exec_lo, s7
	s_cbranch_execz .LBB8_103
; %bb.98:
	s_mov_b32 s8, exec_lo
                                        ; implicit-def: $vgpr3
	v_cmpx_lt_u32_e32 0x387fffff, v6
	s_xor_b32 s8, exec_lo, s8
; %bb.99:
	v_bfe_u32 v3, v2, 21, 1
	v_add3_u32 v3, v2, v3, 0x80fffff
	v_lshrrev_b32_e32 v3, 21, v3
; %bb.100:
	s_andn2_saveexec_b32 s8, s8
; %bb.101:
	v_add_f32_e64 v3, 0x43000000, |v2|
; %bb.102:
	s_or_b32 exec_lo, exec_lo, s8
                                        ; implicit-def: $vgpr6
.LBB8_103:
	s_andn2_saveexec_b32 s7, s7
; %bb.104:
	v_mov_b32_e32 v3, 0x7f
	v_cmp_lt_u32_e32 vcc_lo, 0x7f800000, v6
	v_cndmask_b32_e32 v3, 0x7c, v3, vcc_lo
; %bb.105:
	s_or_b32 exec_lo, exec_lo, s7
	v_lshrrev_b32_e32 v2, 24, v2
	v_and_or_b32 v2, 0x80, v2, v3
	global_store_byte v[4:5], v2, off
.LBB8_106:
	s_mov_b32 s8, 0
	s_mov_b32 s7, -1
.LBB8_107:
	s_andn2_b32 vcc_lo, exec_lo, s8
	s_cbranch_vccnz .LBB8_115
; %bb.108:
	s_cmp_gt_i32 s6, 14
	s_mov_b32 s8, -1
	s_cbranch_scc0 .LBB8_112
; %bb.109:
	s_cmp_eq_u32 s6, 15
	s_mov_b32 s4, -1
	s_cbranch_scc0 .LBB8_111
; %bb.110:
	v_cvt_f32_f64_e32 v2, v[0:1]
	s_mov_b32 s7, -1
	s_mov_b32 s4, 0
	v_bfe_u32 v3, v2, 16, 1
	v_cmp_o_f32_e32 vcc_lo, v2, v2
	v_add3_u32 v2, v2, v3, 0x7fff
	v_mov_b32_e32 v3, 0x7fc0
	v_cndmask_b32_sdwa v2, v3, v2, vcc_lo dst_sel:DWORD dst_unused:UNUSED_PAD src0_sel:DWORD src1_sel:WORD_1
	global_store_short v[4:5], v2, off
.LBB8_111:
	s_mov_b32 s8, 0
.LBB8_112:
	s_and_b32 vcc_lo, exec_lo, s8
	s_cbranch_vccz .LBB8_115
; %bb.113:
	s_cmp_eq_u32 s6, 11
	s_mov_b32 s4, -1
	s_cbranch_scc0 .LBB8_115
; %bb.114:
	v_cmp_neq_f64_e32 vcc_lo, 0, v[0:1]
	s_mov_b32 s7, -1
	s_mov_b32 s4, 0
	v_cndmask_b32_e64 v2, 0, 1, vcc_lo
	global_store_byte v[4:5], v2, off
.LBB8_115:
	s_branch .LBB8_34
.LBB8_116:
	s_and_b32 s5, 0xffff, s5
	s_mov_b32 s6, -1
	s_cmp_lt_i32 s5, 5
	s_cbranch_scc1 .LBB8_137
; %bb.117:
	s_cmp_lt_i32 s5, 8
	s_cbranch_scc1 .LBB8_127
; %bb.118:
	;; [unrolled: 3-line block ×3, first 2 shown]
	s_cmp_gt_i32 s5, 9
	s_cbranch_scc0 .LBB8_121
; %bb.120:
	v_mov_b32_e32 v2, 0
	s_mov_b32 s6, 0
	v_mov_b32_e32 v3, v2
	global_store_dwordx4 v[4:5], v[0:3], off
.LBB8_121:
	s_andn2_b32 vcc_lo, exec_lo, s6
	s_cbranch_vccnz .LBB8_123
; %bb.122:
	v_cvt_f32_f64_e32 v2, v[0:1]
	v_mov_b32_e32 v3, 0
	global_store_dwordx2 v[4:5], v[2:3], off
.LBB8_123:
	s_mov_b32 s6, 0
.LBB8_124:
	s_andn2_b32 vcc_lo, exec_lo, s6
	s_cbranch_vccnz .LBB8_126
; %bb.125:
	v_and_or_b32 v2, 0x1ff, v1, v0
	v_lshrrev_b32_e32 v3, 8, v1
	v_bfe_u32 v6, v1, 20, 11
	v_cmp_ne_u32_e32 vcc_lo, 0, v2
	v_sub_nc_u32_e32 v7, 0x3f1, v6
	v_add_nc_u32_e32 v6, 0xfffffc10, v6
	v_cndmask_b32_e64 v2, 0, 1, vcc_lo
	v_and_or_b32 v2, 0xffe, v3, v2
	v_med3_i32 v3, v7, 0, 13
	v_or_b32_e32 v7, 0x1000, v2
	v_lshrrev_b32_e32 v8, v3, v7
	v_lshlrev_b32_e32 v3, v3, v8
	v_cmp_ne_u32_e32 vcc_lo, v3, v7
	v_lshl_or_b32 v7, v6, 12, v2
	v_cndmask_b32_e64 v3, 0, 1, vcc_lo
	v_cmp_gt_i32_e32 vcc_lo, 1, v6
	v_or_b32_e32 v3, v8, v3
	v_cndmask_b32_e32 v3, v7, v3, vcc_lo
	v_and_b32_e32 v7, 7, v3
	v_lshrrev_b32_e32 v3, 2, v3
	v_cmp_lt_i32_e32 vcc_lo, 5, v7
	v_cndmask_b32_e64 v8, 0, 1, vcc_lo
	v_cmp_eq_u32_e32 vcc_lo, 3, v7
	v_cndmask_b32_e64 v7, 0, 1, vcc_lo
	v_cmp_ne_u32_e32 vcc_lo, 0, v2
	v_or_b32_e32 v7, v7, v8
	v_mov_b32_e32 v8, 0x7e00
	v_add_nc_u32_e32 v3, v3, v7
	v_cndmask_b32_e32 v2, 0x7c00, v8, vcc_lo
	v_cmp_gt_i32_e32 vcc_lo, 31, v6
	v_cndmask_b32_e32 v3, 0x7c00, v3, vcc_lo
	v_cmp_eq_u32_e32 vcc_lo, 0x40f, v6
	v_cndmask_b32_e32 v2, v3, v2, vcc_lo
	v_lshrrev_b32_e32 v3, 16, v1
	v_and_or_b32 v2, 0x8000, v3, v2
	v_and_b32_e32 v2, 0xffff, v2
	global_store_dword v[4:5], v2, off
.LBB8_126:
	s_mov_b32 s6, 0
.LBB8_127:
	s_andn2_b32 vcc_lo, exec_lo, s6
	s_cbranch_vccnz .LBB8_136
; %bb.128:
	s_cmp_lt_i32 s5, 6
	s_mov_b32 s6, -1
	s_cbranch_scc1 .LBB8_134
; %bb.129:
	s_cmp_gt_i32 s5, 6
	s_cbranch_scc0 .LBB8_131
; %bb.130:
	s_mov_b32 s6, 0
	global_store_dwordx2 v[4:5], v[0:1], off
.LBB8_131:
	s_andn2_b32 vcc_lo, exec_lo, s6
	s_cbranch_vccnz .LBB8_133
; %bb.132:
	v_cvt_f32_f64_e32 v2, v[0:1]
	global_store_dword v[4:5], v2, off
.LBB8_133:
	s_mov_b32 s6, 0
.LBB8_134:
	s_andn2_b32 vcc_lo, exec_lo, s6
	s_cbranch_vccnz .LBB8_136
; %bb.135:
	v_and_or_b32 v2, 0x1ff, v1, v0
	v_lshrrev_b32_e32 v3, 8, v1
	v_bfe_u32 v6, v1, 20, 11
	v_cmp_ne_u32_e32 vcc_lo, 0, v2
	v_sub_nc_u32_e32 v7, 0x3f1, v6
	v_add_nc_u32_e32 v6, 0xfffffc10, v6
	v_cndmask_b32_e64 v2, 0, 1, vcc_lo
	v_and_or_b32 v2, 0xffe, v3, v2
	v_med3_i32 v3, v7, 0, 13
	v_or_b32_e32 v7, 0x1000, v2
	v_lshrrev_b32_e32 v8, v3, v7
	v_lshlrev_b32_e32 v3, v3, v8
	v_cmp_ne_u32_e32 vcc_lo, v3, v7
	v_lshl_or_b32 v7, v6, 12, v2
	v_cndmask_b32_e64 v3, 0, 1, vcc_lo
	v_cmp_gt_i32_e32 vcc_lo, 1, v6
	v_or_b32_e32 v3, v8, v3
	v_cndmask_b32_e32 v3, v7, v3, vcc_lo
	v_and_b32_e32 v7, 7, v3
	v_lshrrev_b32_e32 v3, 2, v3
	v_cmp_lt_i32_e32 vcc_lo, 5, v7
	v_cndmask_b32_e64 v8, 0, 1, vcc_lo
	v_cmp_eq_u32_e32 vcc_lo, 3, v7
	v_cndmask_b32_e64 v7, 0, 1, vcc_lo
	v_cmp_ne_u32_e32 vcc_lo, 0, v2
	v_or_b32_e32 v7, v7, v8
	v_mov_b32_e32 v8, 0x7e00
	v_add_nc_u32_e32 v3, v3, v7
	v_cndmask_b32_e32 v2, 0x7c00, v8, vcc_lo
	v_cmp_gt_i32_e32 vcc_lo, 31, v6
	v_cndmask_b32_e32 v3, 0x7c00, v3, vcc_lo
	v_cmp_eq_u32_e32 vcc_lo, 0x40f, v6
	v_cndmask_b32_e32 v2, v3, v2, vcc_lo
	v_lshrrev_b32_e32 v3, 16, v1
	v_and_or_b32 v2, 0x8000, v3, v2
	global_store_short v[4:5], v2, off
.LBB8_136:
	s_mov_b32 s6, 0
.LBB8_137:
	s_andn2_b32 vcc_lo, exec_lo, s6
	s_cbranch_vccnz .LBB8_153
; %bb.138:
	s_cmp_lt_i32 s5, 2
	s_mov_b32 s6, -1
	s_cbranch_scc1 .LBB8_148
; %bb.139:
	s_cmp_lt_i32 s5, 3
	s_cbranch_scc1 .LBB8_145
; %bb.140:
	s_cmp_gt_i32 s5, 3
	s_cbranch_scc0 .LBB8_142
; %bb.141:
	v_trunc_f64_e32 v[2:3], v[0:1]
	s_mov_b32 s6, 0
	v_ldexp_f64 v[6:7], v[2:3], 0xffffffe0
	v_floor_f64_e32 v[6:7], v[6:7]
	v_fma_f64 v[2:3], 0xc1f00000, v[6:7], v[2:3]
	v_cvt_i32_f64_e32 v7, v[6:7]
	v_cvt_u32_f64_e32 v6, v[2:3]
	global_store_dwordx2 v[4:5], v[6:7], off
.LBB8_142:
	s_andn2_b32 vcc_lo, exec_lo, s6
	s_cbranch_vccnz .LBB8_144
; %bb.143:
	v_cvt_i32_f64_e32 v2, v[0:1]
	global_store_dword v[4:5], v2, off
.LBB8_144:
	s_mov_b32 s6, 0
.LBB8_145:
	s_andn2_b32 vcc_lo, exec_lo, s6
	s_cbranch_vccnz .LBB8_147
; %bb.146:
	v_cvt_i32_f64_e32 v2, v[0:1]
	global_store_short v[4:5], v2, off
.LBB8_147:
	s_mov_b32 s6, 0
.LBB8_148:
	s_andn2_b32 vcc_lo, exec_lo, s6
	s_cbranch_vccnz .LBB8_153
; %bb.149:
	s_cmp_gt_i32 s5, 0
	s_mov_b32 s5, -1
	s_cbranch_scc0 .LBB8_151
; %bb.150:
	v_cvt_i32_f64_e32 v2, v[0:1]
	s_mov_b32 s5, 0
	global_store_byte v[4:5], v2, off
.LBB8_151:
	s_andn2_b32 vcc_lo, exec_lo, s5
	s_cbranch_vccnz .LBB8_153
; %bb.152:
	v_trunc_f64_e32 v[0:1], v[0:1]
	v_ldexp_f64 v[2:3], v[0:1], 0xffffffe0
	v_floor_f64_e32 v[2:3], v[2:3]
	v_fma_f64 v[0:1], 0xc1f00000, v[2:3], v[0:1]
	v_cvt_u32_f64_e32 v0, v[0:1]
	global_store_byte v[4:5], v0, off
.LBB8_153:
.LBB8_154:
	v_add_nc_u32_e32 v42, 0x80, v42
	s_mov_b32 s5, -1
	s_branch .LBB8_265
.LBB8_155:
	s_mov_b32 s61, -1
                                        ; implicit-def: $vgpr0_vgpr1
.LBB8_156:
	s_mov_b32 s6, 0
.LBB8_157:
	s_and_b32 vcc_lo, exec_lo, s6
	s_cbranch_vccz .LBB8_161
; %bb.158:
	s_cmp_eq_u32 s4, 29
	s_cbranch_scc0 .LBB8_160
; %bb.159:
	global_load_dwordx2 v[0:1], v[2:3], off
	s_mov_b32 s5, -1
	s_mov_b32 s61, 0
	s_mov_b32 s6, 0
	s_waitcnt vmcnt(0)
	v_cvt_f64_u32_e32 v[4:5], v1
	v_cvt_f64_u32_e32 v[0:1], v0
	v_ldexp_f64 v[4:5], v[4:5], 32
	v_add_f64 v[0:1], v[4:5], v[0:1]
	s_branch .LBB8_162
.LBB8_160:
	s_mov_b32 s61, -1
                                        ; implicit-def: $vgpr0_vgpr1
.LBB8_161:
	s_mov_b32 s6, 0
.LBB8_162:
	s_and_b32 vcc_lo, exec_lo, s6
	s_cbranch_vccz .LBB8_182
; %bb.163:
	s_cmp_lt_i32 s4, 27
	s_cbranch_scc1 .LBB8_166
; %bb.164:
	s_cmp_gt_i32 s4, 27
	s_cbranch_scc0 .LBB8_167
; %bb.165:
	global_load_dword v0, v[2:3], off
	s_mov_b32 s5, 0
	s_waitcnt vmcnt(0)
	v_cvt_f64_u32_e32 v[0:1], v0
	s_branch .LBB8_168
.LBB8_166:
	s_mov_b32 s5, -1
                                        ; implicit-def: $vgpr0_vgpr1
	s_branch .LBB8_171
.LBB8_167:
	s_mov_b32 s5, -1
                                        ; implicit-def: $vgpr0_vgpr1
.LBB8_168:
	s_andn2_b32 vcc_lo, exec_lo, s5
	s_cbranch_vccnz .LBB8_170
; %bb.169:
	global_load_ushort v0, v[2:3], off
	s_waitcnt vmcnt(0)
	v_cvt_f64_u32_e32 v[0:1], v0
.LBB8_170:
	s_mov_b32 s5, 0
.LBB8_171:
	s_andn2_b32 vcc_lo, exec_lo, s5
	s_cbranch_vccnz .LBB8_181
; %bb.172:
	global_load_ubyte v4, v[2:3], off
	s_mov_b32 s5, 0
	s_mov_b32 s6, exec_lo
	s_waitcnt vmcnt(0)
	v_cmpx_lt_i16_e32 0x7f, v4
	s_xor_b32 s6, exec_lo, s6
	s_cbranch_execz .LBB8_176
; %bb.173:
	s_mov_b32 s5, -1
	s_mov_b32 s7, exec_lo
	v_cmpx_eq_u16_e32 0x80, v4
; %bb.174:
	s_xor_b32 s5, exec_lo, -1
; %bb.175:
	s_or_b32 exec_lo, exec_lo, s7
	s_and_b32 s5, s5, exec_lo
.LBB8_176:
	s_or_saveexec_b32 s6, s6
	v_bfrev_b32_e32 v0, 4
	v_mov_b32_e32 v1, 0x7ff80000
	s_xor_b32 exec_lo, exec_lo, s6
; %bb.177:
	v_cmp_ne_u16_e32 vcc_lo, 0, v4
	v_mov_b32_e32 v0, 0
	v_mov_b32_e32 v1, 0
	s_andn2_b32 s5, s5, exec_lo
	s_and_b32 s7, vcc_lo, exec_lo
	s_or_b32 s5, s5, s7
; %bb.178:
	s_or_b32 exec_lo, exec_lo, s6
	s_and_saveexec_b32 s6, s5
	s_cbranch_execz .LBB8_180
; %bb.179:
	v_and_b32_e32 v0, 0xffff, v4
	v_lshlrev_b32_e32 v4, 24, v4
	v_and_b32_e32 v1, 7, v0
	v_bfe_u32 v7, v0, 3, 4
	v_ffbh_u32_e32 v5, v1
	v_cmp_eq_u32_e32 vcc_lo, 0, v7
	v_min_u32_e32 v5, 32, v5
	v_subrev_nc_u32_e32 v6, 28, v5
	v_sub_nc_u32_e32 v5, 29, v5
	v_lshlrev_b32_e32 v0, v6, v0
	v_cndmask_b32_e32 v5, v7, v5, vcc_lo
	v_and_b32_e32 v0, 7, v0
	v_cndmask_b32_e32 v0, v1, v0, vcc_lo
	v_and_b32_e32 v1, 0x80000000, v4
	v_lshl_add_u32 v4, v5, 23, 0x3b800000
	v_lshlrev_b32_e32 v0, 20, v0
	v_or3_b32 v0, v1, v4, v0
	v_cvt_f64_f32_e32 v[0:1], v0
.LBB8_180:
	s_or_b32 exec_lo, exec_lo, s6
.LBB8_181:
	s_mov_b32 s5, -1
.LBB8_182:
	s_branch .LBB8_215
.LBB8_183:
	s_cmp_gt_i32 s4, 22
	s_cbranch_scc0 .LBB8_195
; %bb.184:
	s_cmp_lt_i32 s4, 24
	s_cbranch_scc1 .LBB8_196
; %bb.185:
	s_cmp_gt_i32 s4, 24
	s_cbranch_scc0 .LBB8_197
; %bb.186:
	global_load_ubyte v4, v[2:3], off
	s_mov_b32 s5, 0
	s_mov_b32 s6, exec_lo
	s_waitcnt vmcnt(0)
	v_cmpx_lt_i16_e32 0x7f, v4
	s_xor_b32 s6, exec_lo, s6
	s_cbranch_execz .LBB8_190
; %bb.187:
	s_mov_b32 s5, -1
	s_mov_b32 s7, exec_lo
	v_cmpx_eq_u16_e32 0x80, v4
; %bb.188:
	s_xor_b32 s5, exec_lo, -1
; %bb.189:
	s_or_b32 exec_lo, exec_lo, s7
	s_and_b32 s5, s5, exec_lo
.LBB8_190:
	s_or_saveexec_b32 s6, s6
	v_bfrev_b32_e32 v0, 4
	v_mov_b32_e32 v1, 0x7ff80000
	s_xor_b32 exec_lo, exec_lo, s6
; %bb.191:
	v_cmp_ne_u16_e32 vcc_lo, 0, v4
	v_mov_b32_e32 v0, 0
	v_mov_b32_e32 v1, 0
	s_andn2_b32 s5, s5, exec_lo
	s_and_b32 s7, vcc_lo, exec_lo
	s_or_b32 s5, s5, s7
; %bb.192:
	s_or_b32 exec_lo, exec_lo, s6
	s_and_saveexec_b32 s6, s5
	s_cbranch_execz .LBB8_194
; %bb.193:
	v_and_b32_e32 v0, 0xffff, v4
	v_lshlrev_b32_e32 v4, 24, v4
	v_and_b32_e32 v1, 3, v0
	v_bfe_u32 v7, v0, 2, 5
	v_ffbh_u32_e32 v5, v1
	v_cmp_eq_u32_e32 vcc_lo, 0, v7
	v_min_u32_e32 v5, 32, v5
	v_subrev_nc_u32_e32 v6, 29, v5
	v_sub_nc_u32_e32 v5, 30, v5
	v_lshlrev_b32_e32 v0, v6, v0
	v_cndmask_b32_e32 v5, v7, v5, vcc_lo
	v_and_b32_e32 v0, 3, v0
	v_cndmask_b32_e32 v0, v1, v0, vcc_lo
	v_and_b32_e32 v1, 0x80000000, v4
	v_lshl_add_u32 v4, v5, 23, 0x37800000
	v_lshlrev_b32_e32 v0, 21, v0
	v_or3_b32 v0, v1, v4, v0
	v_cvt_f64_f32_e32 v[0:1], v0
.LBB8_194:
	s_or_b32 exec_lo, exec_lo, s6
	s_mov_b32 s5, 0
	s_branch .LBB8_198
.LBB8_195:
	s_mov_b32 s6, -1
                                        ; implicit-def: $vgpr0_vgpr1
	s_branch .LBB8_204
.LBB8_196:
	s_mov_b32 s5, -1
                                        ; implicit-def: $vgpr0_vgpr1
	s_branch .LBB8_201
.LBB8_197:
	s_mov_b32 s5, -1
                                        ; implicit-def: $vgpr0_vgpr1
.LBB8_198:
	s_and_b32 vcc_lo, exec_lo, s5
	s_cbranch_vccz .LBB8_200
; %bb.199:
	global_load_ubyte v0, v[2:3], off
	s_waitcnt vmcnt(0)
	v_lshlrev_b32_e32 v0, 24, v0
	v_and_b32_e32 v1, 0x7f000000, v0
	v_ffbh_u32_e32 v4, v1
	v_add_nc_u32_e32 v6, 0x1000000, v1
	v_cmp_ne_u32_e32 vcc_lo, 0, v1
	v_min_u32_e32 v4, 32, v4
	v_sub_nc_u32_e64 v4, v4, 4 clamp
	v_lshlrev_b32_e32 v5, v4, v1
	v_lshlrev_b32_e32 v4, 23, v4
	v_lshrrev_b32_e32 v5, 4, v5
	v_sub_nc_u32_e32 v4, v5, v4
	v_ashrrev_i32_e32 v5, 8, v6
	v_add_nc_u32_e32 v4, 0x3c000000, v4
	v_and_or_b32 v4, 0x7f800000, v5, v4
	v_cndmask_b32_e32 v1, 0, v4, vcc_lo
	v_and_or_b32 v0, 0x80000000, v0, v1
	v_cvt_f64_f32_e32 v[0:1], v0
.LBB8_200:
	s_mov_b32 s5, 0
.LBB8_201:
	s_andn2_b32 vcc_lo, exec_lo, s5
	s_cbranch_vccnz .LBB8_203
; %bb.202:
	global_load_ubyte v0, v[2:3], off
	s_waitcnt vmcnt(0)
	v_lshlrev_b32_e32 v1, 25, v0
	v_lshlrev_b16 v0, 8, v0
	v_lshrrev_b32_e32 v4, 4, v1
	v_and_or_b32 v5, 0x7f00, v0, 0.5
	v_cmp_gt_u32_e32 vcc_lo, 0x8000000, v1
	v_bfe_i32 v0, v0, 0, 16
	v_or_b32_e32 v4, 0x70000000, v4
	v_add_f32_e32 v5, -0.5, v5
	v_mul_f32_e32 v4, 0x7800000, v4
	v_cndmask_b32_e32 v1, v4, v5, vcc_lo
	v_and_or_b32 v0, 0x80000000, v0, v1
	v_cvt_f64_f32_e32 v[0:1], v0
.LBB8_203:
	s_mov_b32 s6, 0
	s_mov_b32 s5, -1
.LBB8_204:
	s_andn2_b32 vcc_lo, exec_lo, s6
	s_cbranch_vccnz .LBB8_215
; %bb.205:
	s_cmp_gt_i32 s4, 14
	s_cbranch_scc0 .LBB8_208
; %bb.206:
	s_cmp_eq_u32 s4, 15
	s_cbranch_scc0 .LBB8_209
; %bb.207:
	global_load_ushort v0, v[2:3], off
	s_mov_b32 s5, -1
	s_mov_b32 s61, 0
	s_waitcnt vmcnt(0)
	v_lshlrev_b32_e32 v0, 16, v0
	v_cvt_f64_f32_e32 v[0:1], v0
	s_branch .LBB8_210
.LBB8_208:
	s_mov_b32 s6, -1
                                        ; implicit-def: $vgpr0_vgpr1
	s_branch .LBB8_211
.LBB8_209:
	s_mov_b32 s61, -1
                                        ; implicit-def: $vgpr0_vgpr1
.LBB8_210:
	s_mov_b32 s6, 0
.LBB8_211:
	s_and_b32 vcc_lo, exec_lo, s6
	s_cbranch_vccz .LBB8_215
; %bb.212:
	s_cmp_eq_u32 s4, 11
	s_cbranch_scc0 .LBB8_214
; %bb.213:
	global_load_ubyte v0, v[2:3], off
	s_mov_b32 s61, 0
	s_mov_b32 s5, -1
	s_waitcnt vmcnt(0)
	v_cmp_ne_u16_e32 vcc_lo, 0, v0
	v_mov_b32_e32 v0, 0
	v_cndmask_b32_e64 v1, 0, 0x3ff00000, vcc_lo
	s_branch .LBB8_215
.LBB8_214:
	s_mov_b32 s61, -1
                                        ; implicit-def: $vgpr0_vgpr1
.LBB8_215:
	s_branch .LBB8_24
.LBB8_216:
	s_cmp_lt_i32 s4, 5
	s_cbranch_scc1 .LBB8_221
; %bb.217:
	s_cmp_lt_i32 s4, 8
	s_cbranch_scc1 .LBB8_222
; %bb.218:
	;; [unrolled: 3-line block ×3, first 2 shown]
	s_cmp_gt_i32 s4, 9
	s_cbranch_scc0 .LBB8_224
; %bb.220:
	global_load_dwordx2 v[0:1], v[2:3], off
	s_mov_b32 s5, 0
	s_branch .LBB8_225
.LBB8_221:
                                        ; implicit-def: $vgpr0_vgpr1
	s_branch .LBB8_243
.LBB8_222:
	s_mov_b32 s5, -1
                                        ; implicit-def: $vgpr0_vgpr1
	s_branch .LBB8_231
.LBB8_223:
	s_mov_b32 s5, -1
                                        ; implicit-def: $vgpr0_vgpr1
	s_branch .LBB8_228
.LBB8_224:
	s_mov_b32 s5, -1
                                        ; implicit-def: $vgpr0_vgpr1
.LBB8_225:
	s_andn2_b32 vcc_lo, exec_lo, s5
	s_cbranch_vccnz .LBB8_227
; %bb.226:
	global_load_dword v0, v[2:3], off
	s_waitcnt vmcnt(0)
	v_cvt_f64_f32_e32 v[0:1], v0
.LBB8_227:
	s_mov_b32 s5, 0
.LBB8_228:
	s_andn2_b32 vcc_lo, exec_lo, s5
	s_cbranch_vccnz .LBB8_230
; %bb.229:
	global_load_dword v0, v[2:3], off
	s_waitcnt vmcnt(0)
	v_cvt_f32_f16_e32 v0, v0
	v_cvt_f64_f32_e32 v[0:1], v0
.LBB8_230:
	s_mov_b32 s5, 0
.LBB8_231:
	s_andn2_b32 vcc_lo, exec_lo, s5
	s_cbranch_vccnz .LBB8_242
; %bb.232:
	s_cmp_lt_i32 s4, 6
	s_cbranch_scc1 .LBB8_235
; %bb.233:
	s_cmp_gt_i32 s4, 6
	s_cbranch_scc0 .LBB8_236
; %bb.234:
	global_load_dwordx2 v[0:1], v[2:3], off
	s_mov_b32 s5, 0
	s_branch .LBB8_237
.LBB8_235:
	s_mov_b32 s5, -1
                                        ; implicit-def: $vgpr0_vgpr1
	s_branch .LBB8_240
.LBB8_236:
	s_mov_b32 s5, -1
                                        ; implicit-def: $vgpr0_vgpr1
.LBB8_237:
	s_andn2_b32 vcc_lo, exec_lo, s5
	s_cbranch_vccnz .LBB8_239
; %bb.238:
	global_load_dword v0, v[2:3], off
	s_waitcnt vmcnt(0)
	v_cvt_f64_f32_e32 v[0:1], v0
.LBB8_239:
	s_mov_b32 s5, 0
.LBB8_240:
	s_andn2_b32 vcc_lo, exec_lo, s5
	s_cbranch_vccnz .LBB8_242
; %bb.241:
	global_load_ushort v0, v[2:3], off
	s_waitcnt vmcnt(0)
	v_cvt_f32_f16_e32 v0, v0
	v_cvt_f64_f32_e32 v[0:1], v0
.LBB8_242:
	s_cbranch_execnz .LBB8_262
.LBB8_243:
	s_cmp_lt_i32 s4, 2
	s_cbranch_scc1 .LBB8_247
; %bb.244:
	s_cmp_lt_i32 s4, 3
	s_cbranch_scc1 .LBB8_248
; %bb.245:
	s_cmp_gt_i32 s4, 3
	s_cbranch_scc0 .LBB8_249
; %bb.246:
	global_load_dwordx2 v[0:1], v[2:3], off
	s_mov_b32 s5, 0
	s_waitcnt vmcnt(0)
	v_cvt_f64_i32_e32 v[4:5], v1
	v_cvt_f64_u32_e32 v[0:1], v0
	v_ldexp_f64 v[4:5], v[4:5], 32
	v_add_f64 v[0:1], v[4:5], v[0:1]
	s_branch .LBB8_250
.LBB8_247:
	s_mov_b32 s5, -1
                                        ; implicit-def: $vgpr0_vgpr1
	s_branch .LBB8_256
.LBB8_248:
	s_mov_b32 s5, -1
                                        ; implicit-def: $vgpr0_vgpr1
	s_branch .LBB8_253
.LBB8_249:
	s_mov_b32 s5, -1
                                        ; implicit-def: $vgpr0_vgpr1
.LBB8_250:
	s_andn2_b32 vcc_lo, exec_lo, s5
	s_cbranch_vccnz .LBB8_252
; %bb.251:
	global_load_dword v0, v[2:3], off
	s_waitcnt vmcnt(0)
	v_cvt_f64_i32_e32 v[0:1], v0
.LBB8_252:
	s_mov_b32 s5, 0
.LBB8_253:
	s_andn2_b32 vcc_lo, exec_lo, s5
	s_cbranch_vccnz .LBB8_255
; %bb.254:
	global_load_sshort v0, v[2:3], off
	s_waitcnt vmcnt(0)
	v_cvt_f64_i32_e32 v[0:1], v0
.LBB8_255:
	s_mov_b32 s5, 0
.LBB8_256:
	s_andn2_b32 vcc_lo, exec_lo, s5
	s_cbranch_vccnz .LBB8_262
; %bb.257:
	s_cmp_gt_i32 s4, 0
	s_mov_b32 s4, 0
	s_cbranch_scc0 .LBB8_259
; %bb.258:
	global_load_sbyte v0, v[2:3], off
	s_waitcnt vmcnt(0)
	v_cvt_f64_i32_e32 v[0:1], v0
	s_branch .LBB8_260
.LBB8_259:
	s_mov_b32 s4, -1
                                        ; implicit-def: $vgpr0_vgpr1
.LBB8_260:
	s_andn2_b32 vcc_lo, exec_lo, s4
	s_cbranch_vccnz .LBB8_262
; %bb.261:
	global_load_ubyte v0, v[2:3], off
	s_waitcnt vmcnt(0)
	v_cvt_f64_u32_e32 v[0:1], v0
.LBB8_262:
	s_branch .LBB8_25
.LBB8_263:
	s_mov_b32 s4, 0
.LBB8_264:
	s_mov_b32 s5, 0
                                        ; implicit-def: $vgpr42
.LBB8_265:
	s_and_b32 s60, s4, exec_lo
	s_and_b32 s61, s61, exec_lo
	s_orn2_b32 s5, s5, exec_lo
.LBB8_266:
	s_or_b32 exec_lo, exec_lo, s62
	s_mov_b32 s6, 0
	s_mov_b32 s4, 0
                                        ; implicit-def: $vgpr0_vgpr1
                                        ; implicit-def: $vgpr40
                                        ; implicit-def: $vgpr2_vgpr3
	s_and_saveexec_b32 s62, s5
	s_cbranch_execz .LBB8_273
; %bb.267:
	s_mov_b32 s4, -1
	s_mov_b32 s63, s61
	s_mov_b32 s64, s60
	s_mov_b32 s65, exec_lo
	v_cmpx_gt_i32_e64 s57, v42
	s_cbranch_execz .LBB8_543
; %bb.268:
	s_andn2_b32 vcc_lo, exec_lo, s52
	s_cbranch_vccnz .LBB8_276
; %bb.269:
	s_andn2_b32 vcc_lo, exec_lo, s58
	s_cbranch_vccnz .LBB8_277
; %bb.270:
	s_add_i32 s9, s59, 1
	s_cmp_eq_u32 s50, 2
	s_cbranch_scc1 .LBB8_278
; %bb.271:
	s_waitcnt vmcnt(0)
	v_mov_b32_e32 v0, 0
	v_mov_b32_e32 v40, 0
	;; [unrolled: 1-line block ×3, first 2 shown]
	s_and_b32 s8, s9, 28
	s_mov_b32 s10, 0
	s_mov_b64 s[4:5], s[28:29]
	s_mov_b64 s[6:7], s[48:49]
.LBB8_272:                              ; =>This Inner Loop Header: Depth=1
	s_clause 0x1
	s_load_dwordx8 s[12:19], s[4:5], 0x4
	s_load_dwordx4 s[20:23], s[4:5], 0x24
	s_load_dwordx8 s[68:75], s[6:7], 0x0
	s_add_u32 s4, s4, 48
	s_addc_u32 s5, s5, 0
	s_add_i32 s10, s10, 4
	s_add_u32 s6, s6, 32
	s_addc_u32 s7, s7, 0
	s_cmp_eq_u32 s8, s10
	s_waitcnt lgkmcnt(0)
	v_mul_hi_u32 v2, s13, v1
	v_add_nc_u32_e32 v2, v1, v2
	v_lshrrev_b32_e32 v2, s14, v2
	v_mul_hi_u32 v3, s16, v2
	v_mul_lo_u32 v5, v2, s12
	v_add_nc_u32_e32 v3, v2, v3
	v_sub_nc_u32_e32 v1, v1, v5
	v_lshrrev_b32_e32 v3, s17, v3
	v_mul_lo_u32 v5, v1, s68
	v_mul_lo_u32 v7, v1, s69
	v_mul_hi_u32 v4, s19, v3
	v_add_nc_u32_e32 v4, v3, v4
	v_lshrrev_b32_e32 v4, s20, v4
	v_mul_hi_u32 v6, s22, v4
	v_mul_lo_u32 v8, v4, s18
	v_add_nc_u32_e32 v1, v4, v6
	v_mul_lo_u32 v6, v3, s15
	v_sub_nc_u32_e32 v3, v3, v8
	v_lshrrev_b32_e32 v1, s23, v1
	v_mul_lo_u32 v8, v3, s72
	v_mul_lo_u32 v3, v3, s73
	v_sub_nc_u32_e32 v2, v2, v6
	v_mul_lo_u32 v9, v1, s21
	v_mul_lo_u32 v6, v2, s70
	;; [unrolled: 1-line block ×3, first 2 shown]
	v_sub_nc_u32_e32 v4, v4, v9
	v_add3_u32 v5, v5, v40, v6
	v_mul_lo_u32 v9, v4, s74
	v_mul_lo_u32 v4, v4, s75
	v_add3_u32 v0, v7, v0, v2
	v_add3_u32 v40, v8, v5, v9
	v_add3_u32 v0, v3, v0, v4
	s_cbranch_scc0 .LBB8_272
	s_branch .LBB8_279
.LBB8_273:
	s_or_b32 exec_lo, exec_lo, s62
	s_waitcnt lgkmcnt(0)
	s_mov_b32 s34, 0
	s_and_saveexec_b32 s5, s61
	s_cbranch_execnz .LBB8_921
.LBB8_274:
	s_or_b32 exec_lo, exec_lo, s5
	s_and_saveexec_b32 s5, s63
	s_xor_b32 s5, exec_lo, s5
	s_cbranch_execz .LBB8_922
.LBB8_275:
	s_waitcnt vmcnt(0)
	global_load_ubyte v2, v[0:1], off
	s_or_b32 s4, s4, exec_lo
	s_waitcnt vmcnt(0)
	v_cmp_ne_u16_e32 vcc_lo, 0, v2
	v_mov_b32_e32 v2, 0
	v_cndmask_b32_e64 v3, 0, 0x3ff00000, vcc_lo
	s_or_b32 exec_lo, exec_lo, s5
	s_and_saveexec_b32 s5, s6
	s_cbranch_execz .LBB8_968
	s_branch .LBB8_923
.LBB8_276:
                                        ; implicit-def: $vgpr40
                                        ; implicit-def: $vgpr0
	s_andn2_b32 vcc_lo, exec_lo, s4
	s_cbranch_vccz .LBB8_283
	s_branch .LBB8_285
.LBB8_277:
	v_mov_b32_e32 v40, 0
	s_waitcnt vmcnt(0)
	v_mov_b32_e32 v0, 0
	s_branch .LBB8_282
.LBB8_278:
	v_mov_b32_e32 v40, 0
	s_waitcnt vmcnt(0)
	v_mov_b32_e32 v0, 0
	v_mov_b32_e32 v1, v42
	s_mov_b32 s8, 0
.LBB8_279:
	s_and_b32 s9, s9, 3
	s_cmp_eq_u32 s9, 0
	s_cbranch_scc1 .LBB8_282
; %bb.280:
	s_lshl_b32 s4, s8, 3
	s_mul_i32 s6, s8, 12
	s_add_u32 s4, s28, s4
	s_addc_u32 s5, s29, 0
	s_add_u32 s4, s4, 0xc4
	s_addc_u32 s5, s5, 0
	;; [unrolled: 2-line block ×3, first 2 shown]
	.p2align	6
.LBB8_281:                              ; =>This Inner Loop Header: Depth=1
	s_clause 0x1
	s_load_dwordx2 s[10:11], s[6:7], 0x4
	s_load_dword s8, s[6:7], 0xc
	s_load_dwordx2 s[12:13], s[4:5], 0x0
	s_add_u32 s6, s6, 12
	s_addc_u32 s7, s7, 0
	s_add_u32 s4, s4, 8
	s_addc_u32 s5, s5, 0
	s_add_i32 s9, s9, -1
	s_cmp_lg_u32 s9, 0
	s_waitcnt lgkmcnt(0)
	v_mul_hi_u32 v2, s11, v1
	v_add_nc_u32_e32 v2, v1, v2
	v_lshrrev_b32_e32 v2, s8, v2
	v_mul_lo_u32 v3, v2, s10
	v_sub_nc_u32_e32 v1, v1, v3
	v_mad_u64_u32 v[40:41], null, v1, s12, v[40:41]
	v_mad_u64_u32 v[0:1], null, v1, s13, v[0:1]
	v_mov_b32_e32 v1, v2
	s_cbranch_scc1 .LBB8_281
.LBB8_282:
	s_cbranch_execnz .LBB8_285
.LBB8_283:
	s_waitcnt vmcnt(0) lgkmcnt(0)
	v_mul_hi_u32 v0, s45, v42
	s_andn2_b32 vcc_lo, exec_lo, s56
	v_add_nc_u32_e32 v0, v42, v0
	v_lshrrev_b32_e32 v1, s46, v0
	v_mul_lo_u32 v0, v1, s44
	v_sub_nc_u32_e32 v0, v42, v0
	v_mul_lo_u32 v40, v0, s40
	v_mul_lo_u32 v0, v0, s41
	s_cbranch_vccnz .LBB8_285
; %bb.284:
	v_mul_hi_u32 v2, s34, v1
	v_add_nc_u32_e32 v2, v1, v2
	v_lshrrev_b32_e32 v2, s35, v2
	v_mul_lo_u32 v2, v2, s47
	v_sub_nc_u32_e32 v1, v1, v2
	v_mad_u64_u32 v[40:41], null, v1, s42, v[40:41]
	v_mad_u64_u32 v[0:1], null, v1, s43, v[0:1]
.LBB8_285:
	s_waitcnt vmcnt(0) lgkmcnt(0)
	v_add_co_u32 v2, s4, s38, v0
	v_add_co_ci_u32_e64 v3, null, s39, 0, s4
	s_and_b32 s4, 0xffff, s55
	s_cmp_lt_i32 s4, 11
	s_cbranch_scc1 .LBB8_292
; %bb.286:
	s_cmp_gt_i32 s4, 25
	s_cbranch_scc0 .LBB8_301
; %bb.287:
	s_cmp_gt_i32 s4, 28
	s_cbranch_scc0 .LBB8_303
; %bb.288:
	s_cmp_gt_i32 s4, 43
	s_cbranch_scc0 .LBB8_305
; %bb.289:
	s_cmp_gt_i32 s4, 45
	s_cbranch_scc0 .LBB8_309
; %bb.290:
	s_cmp_eq_u32 s4, 46
	s_mov_b32 s6, 0
	s_cbranch_scc0 .LBB8_313
; %bb.291:
	global_load_dword v0, v[2:3], off
	s_mov_b32 s5, -1
	s_mov_b32 s63, 0
	s_waitcnt vmcnt(0)
	v_lshlrev_b32_e32 v0, 16, v0
	v_cvt_f64_f32_e32 v[0:1], v0
	s_branch .LBB8_315
.LBB8_292:
	s_mov_b32 s5, 0
	s_mov_b32 s63, s61
                                        ; implicit-def: $vgpr0_vgpr1
	s_cbranch_execnz .LBB8_492
.LBB8_293:
	s_andn2_b32 vcc_lo, exec_lo, s5
	s_cbranch_vccnz .LBB8_540
.LBB8_294:
	s_getpc_b64 s[4:5]
	s_add_u32 s4, s4, _ZZZZN2at6native12_GLOBAL__N_121bessel_j1_kernel_cudaERNS_18TensorIteratorBaseEENKUlvE_clEvENKUlvE_clEvENKUldE_clEd@rel32@lo+4
	s_addc_u32 s5, s5, _ZZZZN2at6native12_GLOBAL__N_121bessel_j1_kernel_cudaERNS_18TensorIteratorBaseEENKUlvE_clEvENKUlvE_clEvENKUldE_clEd@rel32@hi+12
	s_swappc_b64 s[30:31], s[4:5]
	v_add_co_u32 v4, s4, s36, v40
	v_add_co_ci_u32_e64 v5, null, s37, 0, s4
	s_and_b32 s5, s54, 0xff
	s_cmp_lt_i32 s5, 11
	s_cbranch_scc1 .LBB8_302
; %bb.295:
	s_and_b32 s6, 0xffff, s5
	s_cmp_gt_i32 s6, 25
	s_cbranch_scc0 .LBB8_304
; %bb.296:
	s_cmp_gt_i32 s6, 28
	s_cbranch_scc0 .LBB8_306
; %bb.297:
	;; [unrolled: 3-line block ×4, first 2 shown]
	s_mov_b32 s8, 0
	s_mov_b32 s4, -1
	s_cmp_eq_u32 s6, 46
	s_mov_b32 s7, 0
	s_cbranch_scc0 .LBB8_319
; %bb.300:
	v_cvt_f32_f64_e32 v2, v[0:1]
	s_mov_b32 s7, -1
	s_mov_b32 s4, 0
	v_bfe_u32 v3, v2, 16, 1
	v_cmp_o_f32_e32 vcc_lo, v2, v2
	v_add3_u32 v2, v2, v3, 0x7fff
	v_mov_b32_e32 v3, 0x7fc0
	v_cndmask_b32_sdwa v2, v3, v2, vcc_lo dst_sel:DWORD dst_unused:UNUSED_PAD src0_sel:DWORD src1_sel:WORD_1
	global_store_dword v[4:5], v2, off
	s_branch .LBB8_319
.LBB8_301:
	s_mov_b32 s6, -1
	s_mov_b32 s5, 0
	s_mov_b32 s63, s61
                                        ; implicit-def: $vgpr0_vgpr1
	s_branch .LBB8_458
.LBB8_302:
	s_mov_b32 s6, -1
	s_mov_b32 s7, 0
	s_mov_b32 s4, s60
	s_branch .LBB8_388
.LBB8_303:
	s_mov_b32 s6, -1
	s_mov_b32 s5, 0
	s_mov_b32 s63, s61
                                        ; implicit-def: $vgpr0_vgpr1
	s_branch .LBB8_437
.LBB8_304:
	s_mov_b32 s8, -1
	s_mov_b32 s7, 0
	s_mov_b32 s4, s60
	s_branch .LBB8_346
.LBB8_305:
	s_mov_b32 s6, -1
	s_mov_b32 s5, 0
	s_mov_b32 s63, s61
                                        ; implicit-def: $vgpr0_vgpr1
	s_branch .LBB8_432
.LBB8_306:
	s_mov_b32 s8, -1
	s_mov_b32 s7, 0
	s_mov_b32 s4, s60
	s_branch .LBB8_329
.LBB8_307:
	s_andn2_saveexec_b32 s9, s9
	s_cbranch_execz .LBB8_68
.LBB8_308:
	v_add_f32_e64 v3, 0x46000000, |v2|
	s_andn2_b32 s8, s8, exec_lo
	v_and_b32_e32 v3, 0xff, v3
	v_cmp_ne_u32_e32 vcc_lo, 0, v3
	s_and_b32 s10, vcc_lo, exec_lo
	s_or_b32 s8, s8, s10
	s_or_b32 exec_lo, exec_lo, s9
	v_mov_b32_e32 v6, 0
	s_and_saveexec_b32 s9, s8
	s_cbranch_execnz .LBB8_69
	s_branch .LBB8_70
.LBB8_309:
	s_mov_b32 s6, -1
	s_mov_b32 s5, 0
	s_mov_b32 s63, s61
	s_branch .LBB8_314
.LBB8_310:
	s_mov_b32 s8, -1
	s_mov_b32 s7, 0
	s_mov_b32 s4, s60
	s_branch .LBB8_325
.LBB8_311:
	s_andn2_saveexec_b32 s9, s9
	s_cbranch_execz .LBB8_81
.LBB8_312:
	v_add_f32_e64 v3, 0x42800000, |v2|
	s_andn2_b32 s8, s8, exec_lo
	v_and_b32_e32 v3, 0xff, v3
	v_cmp_ne_u32_e32 vcc_lo, 0, v3
	s_and_b32 s10, vcc_lo, exec_lo
	s_or_b32 s8, s8, s10
	s_or_b32 exec_lo, exec_lo, s9
	v_mov_b32_e32 v6, 0
	s_and_saveexec_b32 s9, s8
	s_cbranch_execnz .LBB8_82
	s_branch .LBB8_83
.LBB8_313:
	s_mov_b32 s63, -1
	s_mov_b32 s5, 0
.LBB8_314:
                                        ; implicit-def: $vgpr0_vgpr1
.LBB8_315:
	s_and_b32 vcc_lo, exec_lo, s6
	s_cbranch_vccz .LBB8_431
; %bb.316:
	s_cmp_eq_u32 s4, 44
	s_cbranch_scc0 .LBB8_430
; %bb.317:
	global_load_ubyte v4, v[2:3], off
	s_mov_b32 s63, 0
	s_mov_b32 s5, -1
	s_waitcnt vmcnt(0)
	v_lshlrev_b32_e32 v0, 23, v4
	v_cmp_ne_u32_e32 vcc_lo, 0xff, v4
	v_cvt_f64_f32_e32 v[0:1], v0
	v_cndmask_b32_e32 v0, 0x20000000, v0, vcc_lo
	v_cndmask_b32_e32 v1, 0x7ff80000, v1, vcc_lo
	v_cmp_ne_u32_e32 vcc_lo, 0, v4
	v_cndmask_b32_e32 v1, 0x38000000, v1, vcc_lo
	v_cndmask_b32_e32 v0, 0, v0, vcc_lo
	s_branch .LBB8_431
.LBB8_318:
	s_mov_b32 s8, -1
	s_mov_b32 s7, 0
	s_mov_b32 s4, s60
.LBB8_319:
	s_and_b32 vcc_lo, exec_lo, s8
	s_cbranch_vccz .LBB8_324
; %bb.320:
	s_cmp_eq_u32 s6, 44
	s_mov_b32 s4, -1
	s_cbranch_scc0 .LBB8_324
; %bb.321:
	v_cvt_f32_f64_e32 v2, v[0:1]
	v_mov_b32_e32 v3, 0xff
	s_mov_b32 s7, exec_lo
	v_bfe_u32 v6, v2, 23, 8
	v_cmpx_ne_u32_e32 0xff, v6
	s_cbranch_execz .LBB8_323
; %bb.322:
	v_and_b32_e32 v3, 0x400000, v2
	v_and_or_b32 v6, 0x3fffff, v2, v6
	v_lshrrev_b32_e32 v2, 23, v2
	v_cmp_ne_u32_e32 vcc_lo, 0, v3
	v_cmp_ne_u32_e64 s4, 0, v6
	s_and_b32 s4, vcc_lo, s4
	v_cndmask_b32_e64 v3, 0, 1, s4
	v_add_nc_u32_e32 v3, v2, v3
.LBB8_323:
	s_or_b32 exec_lo, exec_lo, s7
	s_mov_b32 s7, -1
	s_mov_b32 s4, 0
	global_store_byte v[4:5], v3, off
.LBB8_324:
	s_mov_b32 s8, 0
.LBB8_325:
	s_and_b32 vcc_lo, exec_lo, s8
	s_cbranch_vccz .LBB8_328
; %bb.326:
	s_cmp_eq_u32 s6, 29
	s_mov_b32 s4, -1
	s_cbranch_scc0 .LBB8_328
; %bb.327:
	v_trunc_f64_e32 v[2:3], v[0:1]
	s_mov_b32 s7, -1
	s_mov_b32 s4, 0
	s_mov_b32 s8, 0
	v_ldexp_f64 v[6:7], v[2:3], 0xffffffe0
	v_floor_f64_e32 v[6:7], v[6:7]
	v_fma_f64 v[2:3], 0xc1f00000, v[6:7], v[2:3]
	v_cvt_u32_f64_e32 v7, v[6:7]
	v_cvt_u32_f64_e32 v6, v[2:3]
	global_store_dwordx2 v[4:5], v[6:7], off
	s_branch .LBB8_329
.LBB8_328:
	s_mov_b32 s8, 0
.LBB8_329:
	s_and_b32 vcc_lo, exec_lo, s8
	s_cbranch_vccz .LBB8_345
; %bb.330:
	s_cmp_lt_i32 s6, 27
	s_mov_b32 s7, -1
	s_cbranch_scc1 .LBB8_336
; %bb.331:
	v_cvt_u32_f64_e32 v2, v[0:1]
	s_cmp_gt_i32 s6, 27
	s_cbranch_scc0 .LBB8_333
; %bb.332:
	s_mov_b32 s7, 0
	global_store_dword v[4:5], v2, off
.LBB8_333:
	s_andn2_b32 vcc_lo, exec_lo, s7
	s_cbranch_vccnz .LBB8_335
; %bb.334:
	global_store_short v[4:5], v2, off
.LBB8_335:
	s_mov_b32 s7, 0
.LBB8_336:
	s_andn2_b32 vcc_lo, exec_lo, s7
	s_cbranch_vccnz .LBB8_344
; %bb.337:
	v_cvt_f32_f64_e32 v2, v[0:1]
	v_mov_b32_e32 v6, 0x80
	s_mov_b32 s7, exec_lo
	v_and_b32_e32 v3, 0x7fffffff, v2
	v_cmpx_gt_u32_e32 0x43800000, v3
	s_cbranch_execz .LBB8_343
; %bb.338:
	v_cmp_lt_u32_e32 vcc_lo, 0x3bffffff, v3
	s_mov_b32 s8, 0
                                        ; implicit-def: $vgpr3
	s_and_saveexec_b32 s9, vcc_lo
	s_xor_b32 s9, exec_lo, s9
	s_cbranch_execz .LBB8_571
; %bb.339:
	v_bfe_u32 v3, v2, 20, 1
	s_mov_b32 s8, exec_lo
	v_add3_u32 v3, v2, v3, 0x487ffff
	v_lshrrev_b32_e32 v3, 20, v3
	s_andn2_saveexec_b32 s9, s9
	s_cbranch_execnz .LBB8_572
.LBB8_340:
	s_or_b32 exec_lo, exec_lo, s9
	v_mov_b32_e32 v6, 0
	s_and_saveexec_b32 s9, s8
.LBB8_341:
	v_lshrrev_b32_e32 v2, 24, v2
	v_and_or_b32 v6, 0x80, v2, v3
.LBB8_342:
	s_or_b32 exec_lo, exec_lo, s9
.LBB8_343:
	s_or_b32 exec_lo, exec_lo, s7
	global_store_byte v[4:5], v6, off
.LBB8_344:
	s_mov_b32 s7, -1
.LBB8_345:
	s_mov_b32 s8, 0
.LBB8_346:
	s_and_b32 vcc_lo, exec_lo, s8
	s_cbranch_vccz .LBB8_387
; %bb.347:
	s_cmp_gt_i32 s6, 22
	s_mov_b32 s8, -1
	s_cbranch_scc0 .LBB8_379
; %bb.348:
	s_cmp_lt_i32 s6, 24
	s_mov_b32 s7, -1
	s_cbranch_scc1 .LBB8_368
; %bb.349:
	s_cmp_gt_i32 s6, 24
	s_cbranch_scc0 .LBB8_357
; %bb.350:
	v_cvt_f32_f64_e32 v2, v[0:1]
	v_mov_b32_e32 v6, 0x80
	s_mov_b32 s7, exec_lo
	v_and_b32_e32 v3, 0x7fffffff, v2
	v_cmpx_gt_u32_e32 0x47800000, v3
	s_cbranch_execz .LBB8_356
; %bb.351:
	v_cmp_lt_u32_e32 vcc_lo, 0x37ffffff, v3
	s_mov_b32 s8, 0
                                        ; implicit-def: $vgpr3
	s_and_saveexec_b32 s9, vcc_lo
	s_xor_b32 s9, exec_lo, s9
	s_cbranch_execz .LBB8_574
; %bb.352:
	v_bfe_u32 v3, v2, 21, 1
	s_mov_b32 s8, exec_lo
	v_add3_u32 v3, v2, v3, 0x88fffff
	v_lshrrev_b32_e32 v3, 21, v3
	s_andn2_saveexec_b32 s9, s9
	s_cbranch_execnz .LBB8_575
.LBB8_353:
	s_or_b32 exec_lo, exec_lo, s9
	v_mov_b32_e32 v6, 0
	s_and_saveexec_b32 s9, s8
.LBB8_354:
	v_lshrrev_b32_e32 v2, 24, v2
	v_and_or_b32 v6, 0x80, v2, v3
.LBB8_355:
	s_or_b32 exec_lo, exec_lo, s9
.LBB8_356:
	s_or_b32 exec_lo, exec_lo, s7
	s_mov_b32 s7, 0
	global_store_byte v[4:5], v6, off
.LBB8_357:
	s_and_b32 vcc_lo, exec_lo, s7
	s_cbranch_vccz .LBB8_367
; %bb.358:
	v_cvt_f32_f64_e32 v2, v[0:1]
	s_mov_b32 s7, exec_lo
                                        ; implicit-def: $vgpr3
	v_and_b32_e32 v6, 0x7fffffff, v2
	v_cmpx_gt_u32_e32 0x43f00000, v6
	s_xor_b32 s7, exec_lo, s7
	s_cbranch_execz .LBB8_364
; %bb.359:
	s_mov_b32 s8, exec_lo
                                        ; implicit-def: $vgpr3
	v_cmpx_lt_u32_e32 0x3c7fffff, v6
	s_xor_b32 s8, exec_lo, s8
; %bb.360:
	v_bfe_u32 v3, v2, 20, 1
	v_add3_u32 v3, v2, v3, 0x407ffff
	v_and_b32_e32 v6, 0xff00000, v3
	v_lshrrev_b32_e32 v3, 20, v3
	v_cmp_ne_u32_e32 vcc_lo, 0x7f00000, v6
	v_cndmask_b32_e32 v3, 0x7e, v3, vcc_lo
; %bb.361:
	s_andn2_saveexec_b32 s8, s8
; %bb.362:
	v_add_f32_e64 v3, 0x46800000, |v2|
; %bb.363:
	s_or_b32 exec_lo, exec_lo, s8
                                        ; implicit-def: $vgpr6
.LBB8_364:
	s_andn2_saveexec_b32 s7, s7
; %bb.365:
	v_mov_b32_e32 v3, 0x7f
	v_cmp_lt_u32_e32 vcc_lo, 0x7f800000, v6
	v_cndmask_b32_e32 v3, 0x7e, v3, vcc_lo
; %bb.366:
	s_or_b32 exec_lo, exec_lo, s7
	v_lshrrev_b32_e32 v2, 24, v2
	v_and_or_b32 v2, 0x80, v2, v3
	global_store_byte v[4:5], v2, off
.LBB8_367:
	s_mov_b32 s7, 0
.LBB8_368:
	s_andn2_b32 vcc_lo, exec_lo, s7
	s_cbranch_vccnz .LBB8_378
; %bb.369:
	v_cvt_f32_f64_e32 v2, v[0:1]
	s_mov_b32 s7, exec_lo
                                        ; implicit-def: $vgpr3
	v_and_b32_e32 v6, 0x7fffffff, v2
	v_cmpx_gt_u32_e32 0x47800000, v6
	s_xor_b32 s7, exec_lo, s7
	s_cbranch_execz .LBB8_375
; %bb.370:
	s_mov_b32 s8, exec_lo
                                        ; implicit-def: $vgpr3
	v_cmpx_lt_u32_e32 0x387fffff, v6
	s_xor_b32 s8, exec_lo, s8
; %bb.371:
	v_bfe_u32 v3, v2, 21, 1
	v_add3_u32 v3, v2, v3, 0x80fffff
	v_lshrrev_b32_e32 v3, 21, v3
; %bb.372:
	s_andn2_saveexec_b32 s8, s8
; %bb.373:
	v_add_f32_e64 v3, 0x43000000, |v2|
; %bb.374:
	s_or_b32 exec_lo, exec_lo, s8
                                        ; implicit-def: $vgpr6
.LBB8_375:
	s_andn2_saveexec_b32 s7, s7
; %bb.376:
	v_mov_b32_e32 v3, 0x7f
	v_cmp_lt_u32_e32 vcc_lo, 0x7f800000, v6
	v_cndmask_b32_e32 v3, 0x7c, v3, vcc_lo
; %bb.377:
	s_or_b32 exec_lo, exec_lo, s7
	v_lshrrev_b32_e32 v2, 24, v2
	v_and_or_b32 v2, 0x80, v2, v3
	global_store_byte v[4:5], v2, off
.LBB8_378:
	s_mov_b32 s8, 0
	s_mov_b32 s7, -1
.LBB8_379:
	s_andn2_b32 vcc_lo, exec_lo, s8
	s_cbranch_vccnz .LBB8_387
; %bb.380:
	s_cmp_gt_i32 s6, 14
	s_mov_b32 s8, -1
	s_cbranch_scc0 .LBB8_384
; %bb.381:
	s_cmp_eq_u32 s6, 15
	s_mov_b32 s4, -1
	s_cbranch_scc0 .LBB8_383
; %bb.382:
	v_cvt_f32_f64_e32 v2, v[0:1]
	s_mov_b32 s7, -1
	s_mov_b32 s4, 0
	v_bfe_u32 v3, v2, 16, 1
	v_cmp_o_f32_e32 vcc_lo, v2, v2
	v_add3_u32 v2, v2, v3, 0x7fff
	v_mov_b32_e32 v3, 0x7fc0
	v_cndmask_b32_sdwa v2, v3, v2, vcc_lo dst_sel:DWORD dst_unused:UNUSED_PAD src0_sel:DWORD src1_sel:WORD_1
	global_store_short v[4:5], v2, off
.LBB8_383:
	s_mov_b32 s8, 0
.LBB8_384:
	s_and_b32 vcc_lo, exec_lo, s8
	s_cbranch_vccz .LBB8_387
; %bb.385:
	s_cmp_eq_u32 s6, 11
	s_mov_b32 s4, -1
	s_cbranch_scc0 .LBB8_387
; %bb.386:
	v_cmp_neq_f64_e32 vcc_lo, 0, v[0:1]
	s_mov_b32 s7, -1
	s_mov_b32 s4, 0
	v_cndmask_b32_e64 v2, 0, 1, vcc_lo
	global_store_byte v[4:5], v2, off
.LBB8_387:
	s_mov_b32 s6, 0
.LBB8_388:
	s_and_b32 vcc_lo, exec_lo, s6
	s_cbranch_vccz .LBB8_427
; %bb.389:
	s_and_b32 s5, 0xffff, s5
	s_mov_b32 s6, -1
	s_cmp_lt_i32 s5, 5
	s_cbranch_scc1 .LBB8_410
; %bb.390:
	s_cmp_lt_i32 s5, 8
	s_cbranch_scc1 .LBB8_400
; %bb.391:
	;; [unrolled: 3-line block ×3, first 2 shown]
	s_cmp_gt_i32 s5, 9
	s_cbranch_scc0 .LBB8_394
; %bb.393:
	v_mov_b32_e32 v2, 0
	s_mov_b32 s6, 0
	v_mov_b32_e32 v3, v2
	global_store_dwordx4 v[4:5], v[0:3], off
.LBB8_394:
	s_andn2_b32 vcc_lo, exec_lo, s6
	s_cbranch_vccnz .LBB8_396
; %bb.395:
	v_cvt_f32_f64_e32 v2, v[0:1]
	v_mov_b32_e32 v3, 0
	global_store_dwordx2 v[4:5], v[2:3], off
.LBB8_396:
	s_mov_b32 s6, 0
.LBB8_397:
	s_andn2_b32 vcc_lo, exec_lo, s6
	s_cbranch_vccnz .LBB8_399
; %bb.398:
	v_and_or_b32 v2, 0x1ff, v1, v0
	v_lshrrev_b32_e32 v3, 8, v1
	v_bfe_u32 v6, v1, 20, 11
	v_cmp_ne_u32_e32 vcc_lo, 0, v2
	v_sub_nc_u32_e32 v7, 0x3f1, v6
	v_add_nc_u32_e32 v6, 0xfffffc10, v6
	v_cndmask_b32_e64 v2, 0, 1, vcc_lo
	v_and_or_b32 v2, 0xffe, v3, v2
	v_med3_i32 v3, v7, 0, 13
	v_or_b32_e32 v7, 0x1000, v2
	v_lshrrev_b32_e32 v8, v3, v7
	v_lshlrev_b32_e32 v3, v3, v8
	v_cmp_ne_u32_e32 vcc_lo, v3, v7
	v_lshl_or_b32 v7, v6, 12, v2
	v_cndmask_b32_e64 v3, 0, 1, vcc_lo
	v_cmp_gt_i32_e32 vcc_lo, 1, v6
	v_or_b32_e32 v3, v8, v3
	v_cndmask_b32_e32 v3, v7, v3, vcc_lo
	v_and_b32_e32 v7, 7, v3
	v_lshrrev_b32_e32 v3, 2, v3
	v_cmp_lt_i32_e32 vcc_lo, 5, v7
	v_cndmask_b32_e64 v8, 0, 1, vcc_lo
	v_cmp_eq_u32_e32 vcc_lo, 3, v7
	v_cndmask_b32_e64 v7, 0, 1, vcc_lo
	v_cmp_ne_u32_e32 vcc_lo, 0, v2
	v_or_b32_e32 v7, v7, v8
	v_mov_b32_e32 v8, 0x7e00
	v_add_nc_u32_e32 v3, v3, v7
	v_cndmask_b32_e32 v2, 0x7c00, v8, vcc_lo
	v_cmp_gt_i32_e32 vcc_lo, 31, v6
	v_cndmask_b32_e32 v3, 0x7c00, v3, vcc_lo
	v_cmp_eq_u32_e32 vcc_lo, 0x40f, v6
	v_cndmask_b32_e32 v2, v3, v2, vcc_lo
	v_lshrrev_b32_e32 v3, 16, v1
	v_and_or_b32 v2, 0x8000, v3, v2
	v_and_b32_e32 v2, 0xffff, v2
	global_store_dword v[4:5], v2, off
.LBB8_399:
	s_mov_b32 s6, 0
.LBB8_400:
	s_andn2_b32 vcc_lo, exec_lo, s6
	s_cbranch_vccnz .LBB8_409
; %bb.401:
	s_cmp_lt_i32 s5, 6
	s_mov_b32 s6, -1
	s_cbranch_scc1 .LBB8_407
; %bb.402:
	s_cmp_gt_i32 s5, 6
	s_cbranch_scc0 .LBB8_404
; %bb.403:
	s_mov_b32 s6, 0
	global_store_dwordx2 v[4:5], v[0:1], off
.LBB8_404:
	s_andn2_b32 vcc_lo, exec_lo, s6
	s_cbranch_vccnz .LBB8_406
; %bb.405:
	v_cvt_f32_f64_e32 v2, v[0:1]
	global_store_dword v[4:5], v2, off
.LBB8_406:
	s_mov_b32 s6, 0
.LBB8_407:
	s_andn2_b32 vcc_lo, exec_lo, s6
	s_cbranch_vccnz .LBB8_409
; %bb.408:
	v_and_or_b32 v2, 0x1ff, v1, v0
	v_lshrrev_b32_e32 v3, 8, v1
	v_bfe_u32 v6, v1, 20, 11
	v_cmp_ne_u32_e32 vcc_lo, 0, v2
	v_sub_nc_u32_e32 v7, 0x3f1, v6
	v_add_nc_u32_e32 v6, 0xfffffc10, v6
	v_cndmask_b32_e64 v2, 0, 1, vcc_lo
	v_and_or_b32 v2, 0xffe, v3, v2
	v_med3_i32 v3, v7, 0, 13
	v_or_b32_e32 v7, 0x1000, v2
	v_lshrrev_b32_e32 v8, v3, v7
	v_lshlrev_b32_e32 v3, v3, v8
	v_cmp_ne_u32_e32 vcc_lo, v3, v7
	v_lshl_or_b32 v7, v6, 12, v2
	v_cndmask_b32_e64 v3, 0, 1, vcc_lo
	v_cmp_gt_i32_e32 vcc_lo, 1, v6
	v_or_b32_e32 v3, v8, v3
	v_cndmask_b32_e32 v3, v7, v3, vcc_lo
	v_and_b32_e32 v7, 7, v3
	v_lshrrev_b32_e32 v3, 2, v3
	v_cmp_lt_i32_e32 vcc_lo, 5, v7
	v_cndmask_b32_e64 v8, 0, 1, vcc_lo
	v_cmp_eq_u32_e32 vcc_lo, 3, v7
	v_cndmask_b32_e64 v7, 0, 1, vcc_lo
	v_cmp_ne_u32_e32 vcc_lo, 0, v2
	v_or_b32_e32 v7, v7, v8
	v_mov_b32_e32 v8, 0x7e00
	v_add_nc_u32_e32 v3, v3, v7
	v_cndmask_b32_e32 v2, 0x7c00, v8, vcc_lo
	v_cmp_gt_i32_e32 vcc_lo, 31, v6
	v_cndmask_b32_e32 v3, 0x7c00, v3, vcc_lo
	v_cmp_eq_u32_e32 vcc_lo, 0x40f, v6
	v_cndmask_b32_e32 v2, v3, v2, vcc_lo
	v_lshrrev_b32_e32 v3, 16, v1
	v_and_or_b32 v2, 0x8000, v3, v2
	global_store_short v[4:5], v2, off
.LBB8_409:
	s_mov_b32 s6, 0
.LBB8_410:
	s_andn2_b32 vcc_lo, exec_lo, s6
	s_cbranch_vccnz .LBB8_426
; %bb.411:
	s_cmp_lt_i32 s5, 2
	s_mov_b32 s6, -1
	s_cbranch_scc1 .LBB8_421
; %bb.412:
	s_cmp_lt_i32 s5, 3
	s_cbranch_scc1 .LBB8_418
; %bb.413:
	s_cmp_gt_i32 s5, 3
	s_cbranch_scc0 .LBB8_415
; %bb.414:
	v_trunc_f64_e32 v[2:3], v[0:1]
	s_mov_b32 s6, 0
	v_ldexp_f64 v[6:7], v[2:3], 0xffffffe0
	v_floor_f64_e32 v[6:7], v[6:7]
	v_fma_f64 v[2:3], 0xc1f00000, v[6:7], v[2:3]
	v_cvt_i32_f64_e32 v7, v[6:7]
	v_cvt_u32_f64_e32 v6, v[2:3]
	global_store_dwordx2 v[4:5], v[6:7], off
.LBB8_415:
	s_andn2_b32 vcc_lo, exec_lo, s6
	s_cbranch_vccnz .LBB8_417
; %bb.416:
	v_cvt_i32_f64_e32 v2, v[0:1]
	global_store_dword v[4:5], v2, off
.LBB8_417:
	s_mov_b32 s6, 0
.LBB8_418:
	s_andn2_b32 vcc_lo, exec_lo, s6
	s_cbranch_vccnz .LBB8_420
; %bb.419:
	v_cvt_i32_f64_e32 v2, v[0:1]
	global_store_short v[4:5], v2, off
.LBB8_420:
	s_mov_b32 s6, 0
.LBB8_421:
	s_andn2_b32 vcc_lo, exec_lo, s6
	s_cbranch_vccnz .LBB8_426
; %bb.422:
	s_cmp_gt_i32 s5, 0
	s_mov_b32 s5, -1
	s_cbranch_scc0 .LBB8_424
; %bb.423:
	v_cvt_i32_f64_e32 v2, v[0:1]
	s_mov_b32 s5, 0
	global_store_byte v[4:5], v2, off
.LBB8_424:
	s_andn2_b32 vcc_lo, exec_lo, s5
	s_cbranch_vccnz .LBB8_426
; %bb.425:
	v_trunc_f64_e32 v[0:1], v[0:1]
	v_ldexp_f64 v[2:3], v[0:1], 0xffffffe0
	v_floor_f64_e32 v[2:3], v[2:3]
	v_fma_f64 v[0:1], 0xc1f00000, v[2:3], v[0:1]
	v_cvt_u32_f64_e32 v0, v[0:1]
	global_store_byte v[4:5], v0, off
.LBB8_426:
	s_mov_b32 s7, -1
.LBB8_427:
	s_andn2_b32 vcc_lo, exec_lo, s7
	s_cbranch_vccnz .LBB8_429
; %bb.428:
	v_add_nc_u32_e32 v42, 0x80, v42
	s_mov_b32 s5, -1
	s_branch .LBB8_542
.LBB8_429:
	s_mov_b32 s5, 0
	s_branch .LBB8_541
.LBB8_430:
	s_mov_b32 s63, -1
                                        ; implicit-def: $vgpr0_vgpr1
.LBB8_431:
	s_mov_b32 s6, 0
.LBB8_432:
	s_and_b32 vcc_lo, exec_lo, s6
	s_cbranch_vccz .LBB8_436
; %bb.433:
	s_cmp_eq_u32 s4, 29
	s_cbranch_scc0 .LBB8_435
; %bb.434:
	global_load_dwordx2 v[0:1], v[2:3], off
	s_mov_b32 s5, -1
	s_mov_b32 s63, 0
	s_mov_b32 s6, 0
	s_waitcnt vmcnt(0)
	v_cvt_f64_u32_e32 v[4:5], v1
	v_cvt_f64_u32_e32 v[0:1], v0
	v_ldexp_f64 v[4:5], v[4:5], 32
	v_add_f64 v[0:1], v[4:5], v[0:1]
	s_branch .LBB8_437
.LBB8_435:
	s_mov_b32 s63, -1
                                        ; implicit-def: $vgpr0_vgpr1
.LBB8_436:
	s_mov_b32 s6, 0
.LBB8_437:
	s_and_b32 vcc_lo, exec_lo, s6
	s_cbranch_vccz .LBB8_457
; %bb.438:
	s_cmp_lt_i32 s4, 27
	s_cbranch_scc1 .LBB8_441
; %bb.439:
	s_cmp_gt_i32 s4, 27
	s_cbranch_scc0 .LBB8_442
; %bb.440:
	global_load_dword v0, v[2:3], off
	s_mov_b32 s5, 0
	s_waitcnt vmcnt(0)
	v_cvt_f64_u32_e32 v[0:1], v0
	s_branch .LBB8_443
.LBB8_441:
	s_mov_b32 s5, -1
                                        ; implicit-def: $vgpr0_vgpr1
	s_branch .LBB8_446
.LBB8_442:
	s_mov_b32 s5, -1
                                        ; implicit-def: $vgpr0_vgpr1
.LBB8_443:
	s_andn2_b32 vcc_lo, exec_lo, s5
	s_cbranch_vccnz .LBB8_445
; %bb.444:
	global_load_ushort v0, v[2:3], off
	s_waitcnt vmcnt(0)
	v_cvt_f64_u32_e32 v[0:1], v0
.LBB8_445:
	s_mov_b32 s5, 0
.LBB8_446:
	s_andn2_b32 vcc_lo, exec_lo, s5
	s_cbranch_vccnz .LBB8_456
; %bb.447:
	global_load_ubyte v4, v[2:3], off
	s_mov_b32 s5, 0
	s_mov_b32 s6, exec_lo
	s_waitcnt vmcnt(0)
	v_cmpx_lt_i16_e32 0x7f, v4
	s_xor_b32 s6, exec_lo, s6
	s_cbranch_execz .LBB8_451
; %bb.448:
	s_mov_b32 s5, -1
	s_mov_b32 s7, exec_lo
	v_cmpx_eq_u16_e32 0x80, v4
; %bb.449:
	s_xor_b32 s5, exec_lo, -1
; %bb.450:
	s_or_b32 exec_lo, exec_lo, s7
	s_and_b32 s5, s5, exec_lo
.LBB8_451:
	s_or_saveexec_b32 s6, s6
	v_bfrev_b32_e32 v0, 4
	v_mov_b32_e32 v1, 0x7ff80000
	s_xor_b32 exec_lo, exec_lo, s6
; %bb.452:
	v_cmp_ne_u16_e32 vcc_lo, 0, v4
	v_mov_b32_e32 v0, 0
	v_mov_b32_e32 v1, 0
	s_andn2_b32 s5, s5, exec_lo
	s_and_b32 s7, vcc_lo, exec_lo
	s_or_b32 s5, s5, s7
; %bb.453:
	s_or_b32 exec_lo, exec_lo, s6
	s_and_saveexec_b32 s6, s5
	s_cbranch_execz .LBB8_455
; %bb.454:
	v_and_b32_e32 v0, 0xffff, v4
	v_lshlrev_b32_e32 v4, 24, v4
	v_and_b32_e32 v1, 7, v0
	v_bfe_u32 v7, v0, 3, 4
	v_ffbh_u32_e32 v5, v1
	v_cmp_eq_u32_e32 vcc_lo, 0, v7
	v_min_u32_e32 v5, 32, v5
	v_subrev_nc_u32_e32 v6, 28, v5
	v_sub_nc_u32_e32 v5, 29, v5
	v_lshlrev_b32_e32 v0, v6, v0
	v_cndmask_b32_e32 v5, v7, v5, vcc_lo
	v_and_b32_e32 v0, 7, v0
	v_cndmask_b32_e32 v0, v1, v0, vcc_lo
	v_and_b32_e32 v1, 0x80000000, v4
	v_lshl_add_u32 v4, v5, 23, 0x3b800000
	v_lshlrev_b32_e32 v0, 20, v0
	v_or3_b32 v0, v1, v4, v0
	v_cvt_f64_f32_e32 v[0:1], v0
.LBB8_455:
	s_or_b32 exec_lo, exec_lo, s6
.LBB8_456:
	s_mov_b32 s5, -1
.LBB8_457:
	s_mov_b32 s6, 0
.LBB8_458:
	s_and_b32 vcc_lo, exec_lo, s6
	s_cbranch_vccz .LBB8_491
; %bb.459:
	s_cmp_gt_i32 s4, 22
	s_cbranch_scc0 .LBB8_471
; %bb.460:
	s_cmp_lt_i32 s4, 24
	s_cbranch_scc1 .LBB8_472
; %bb.461:
	s_cmp_gt_i32 s4, 24
	s_cbranch_scc0 .LBB8_473
; %bb.462:
	global_load_ubyte v4, v[2:3], off
	s_mov_b32 s5, 0
	s_mov_b32 s6, exec_lo
	s_waitcnt vmcnt(0)
	v_cmpx_lt_i16_e32 0x7f, v4
	s_xor_b32 s6, exec_lo, s6
	s_cbranch_execz .LBB8_466
; %bb.463:
	s_mov_b32 s5, -1
	s_mov_b32 s7, exec_lo
	v_cmpx_eq_u16_e32 0x80, v4
; %bb.464:
	s_xor_b32 s5, exec_lo, -1
; %bb.465:
	s_or_b32 exec_lo, exec_lo, s7
	s_and_b32 s5, s5, exec_lo
.LBB8_466:
	s_or_saveexec_b32 s6, s6
	v_bfrev_b32_e32 v0, 4
	v_mov_b32_e32 v1, 0x7ff80000
	s_xor_b32 exec_lo, exec_lo, s6
; %bb.467:
	v_cmp_ne_u16_e32 vcc_lo, 0, v4
	v_mov_b32_e32 v0, 0
	v_mov_b32_e32 v1, 0
	s_andn2_b32 s5, s5, exec_lo
	s_and_b32 s7, vcc_lo, exec_lo
	s_or_b32 s5, s5, s7
; %bb.468:
	s_or_b32 exec_lo, exec_lo, s6
	s_and_saveexec_b32 s6, s5
	s_cbranch_execz .LBB8_470
; %bb.469:
	v_and_b32_e32 v0, 0xffff, v4
	v_lshlrev_b32_e32 v4, 24, v4
	v_and_b32_e32 v1, 3, v0
	v_bfe_u32 v7, v0, 2, 5
	v_ffbh_u32_e32 v5, v1
	v_cmp_eq_u32_e32 vcc_lo, 0, v7
	v_min_u32_e32 v5, 32, v5
	v_subrev_nc_u32_e32 v6, 29, v5
	v_sub_nc_u32_e32 v5, 30, v5
	v_lshlrev_b32_e32 v0, v6, v0
	v_cndmask_b32_e32 v5, v7, v5, vcc_lo
	v_and_b32_e32 v0, 3, v0
	v_cndmask_b32_e32 v0, v1, v0, vcc_lo
	v_and_b32_e32 v1, 0x80000000, v4
	v_lshl_add_u32 v4, v5, 23, 0x37800000
	v_lshlrev_b32_e32 v0, 21, v0
	v_or3_b32 v0, v1, v4, v0
	v_cvt_f64_f32_e32 v[0:1], v0
.LBB8_470:
	s_or_b32 exec_lo, exec_lo, s6
	s_mov_b32 s5, 0
	s_branch .LBB8_474
.LBB8_471:
	s_mov_b32 s6, -1
                                        ; implicit-def: $vgpr0_vgpr1
	s_branch .LBB8_480
.LBB8_472:
	s_mov_b32 s5, -1
                                        ; implicit-def: $vgpr0_vgpr1
	s_branch .LBB8_477
.LBB8_473:
	s_mov_b32 s5, -1
                                        ; implicit-def: $vgpr0_vgpr1
.LBB8_474:
	s_and_b32 vcc_lo, exec_lo, s5
	s_cbranch_vccz .LBB8_476
; %bb.475:
	global_load_ubyte v0, v[2:3], off
	s_waitcnt vmcnt(0)
	v_lshlrev_b32_e32 v0, 24, v0
	v_and_b32_e32 v1, 0x7f000000, v0
	v_ffbh_u32_e32 v4, v1
	v_add_nc_u32_e32 v6, 0x1000000, v1
	v_cmp_ne_u32_e32 vcc_lo, 0, v1
	v_min_u32_e32 v4, 32, v4
	v_sub_nc_u32_e64 v4, v4, 4 clamp
	v_lshlrev_b32_e32 v5, v4, v1
	v_lshlrev_b32_e32 v4, 23, v4
	v_lshrrev_b32_e32 v5, 4, v5
	v_sub_nc_u32_e32 v4, v5, v4
	v_ashrrev_i32_e32 v5, 8, v6
	v_add_nc_u32_e32 v4, 0x3c000000, v4
	v_and_or_b32 v4, 0x7f800000, v5, v4
	v_cndmask_b32_e32 v1, 0, v4, vcc_lo
	v_and_or_b32 v0, 0x80000000, v0, v1
	v_cvt_f64_f32_e32 v[0:1], v0
.LBB8_476:
	s_mov_b32 s5, 0
.LBB8_477:
	s_andn2_b32 vcc_lo, exec_lo, s5
	s_cbranch_vccnz .LBB8_479
; %bb.478:
	global_load_ubyte v0, v[2:3], off
	s_waitcnt vmcnt(0)
	v_lshlrev_b32_e32 v1, 25, v0
	v_lshlrev_b16 v0, 8, v0
	v_lshrrev_b32_e32 v4, 4, v1
	v_and_or_b32 v5, 0x7f00, v0, 0.5
	v_cmp_gt_u32_e32 vcc_lo, 0x8000000, v1
	v_bfe_i32 v0, v0, 0, 16
	v_or_b32_e32 v4, 0x70000000, v4
	v_add_f32_e32 v5, -0.5, v5
	v_mul_f32_e32 v4, 0x7800000, v4
	v_cndmask_b32_e32 v1, v4, v5, vcc_lo
	v_and_or_b32 v0, 0x80000000, v0, v1
	v_cvt_f64_f32_e32 v[0:1], v0
.LBB8_479:
	s_mov_b32 s6, 0
	s_mov_b32 s5, -1
.LBB8_480:
	s_andn2_b32 vcc_lo, exec_lo, s6
	s_cbranch_vccnz .LBB8_491
; %bb.481:
	s_cmp_gt_i32 s4, 14
	s_cbranch_scc0 .LBB8_484
; %bb.482:
	s_cmp_eq_u32 s4, 15
	s_cbranch_scc0 .LBB8_485
; %bb.483:
	global_load_ushort v0, v[2:3], off
	s_mov_b32 s5, -1
	s_mov_b32 s63, 0
	s_waitcnt vmcnt(0)
	v_lshlrev_b32_e32 v0, 16, v0
	v_cvt_f64_f32_e32 v[0:1], v0
	s_branch .LBB8_486
.LBB8_484:
	s_mov_b32 s6, -1
                                        ; implicit-def: $vgpr0_vgpr1
	s_branch .LBB8_487
.LBB8_485:
	s_mov_b32 s63, -1
                                        ; implicit-def: $vgpr0_vgpr1
.LBB8_486:
	s_mov_b32 s6, 0
.LBB8_487:
	s_and_b32 vcc_lo, exec_lo, s6
	s_cbranch_vccz .LBB8_491
; %bb.488:
	s_cmp_eq_u32 s4, 11
	s_cbranch_scc0 .LBB8_490
; %bb.489:
	global_load_ubyte v0, v[2:3], off
	s_mov_b32 s63, 0
	s_mov_b32 s5, -1
	s_waitcnt vmcnt(0)
	v_cmp_ne_u16_e32 vcc_lo, 0, v0
	v_mov_b32_e32 v0, 0
	v_cndmask_b32_e64 v1, 0, 0x3ff00000, vcc_lo
	s_branch .LBB8_491
.LBB8_490:
	s_mov_b32 s63, -1
                                        ; implicit-def: $vgpr0_vgpr1
.LBB8_491:
	s_branch .LBB8_293
.LBB8_492:
	s_cmp_lt_i32 s4, 5
	s_cbranch_scc1 .LBB8_497
; %bb.493:
	s_cmp_lt_i32 s4, 8
	s_cbranch_scc1 .LBB8_498
; %bb.494:
	;; [unrolled: 3-line block ×3, first 2 shown]
	s_cmp_gt_i32 s4, 9
	s_cbranch_scc0 .LBB8_500
; %bb.496:
	global_load_dwordx2 v[0:1], v[2:3], off
	s_mov_b32 s5, 0
	s_branch .LBB8_501
.LBB8_497:
	s_mov_b32 s5, -1
                                        ; implicit-def: $vgpr0_vgpr1
	s_branch .LBB8_519
.LBB8_498:
	s_mov_b32 s5, -1
                                        ; implicit-def: $vgpr0_vgpr1
	s_branch .LBB8_507
.LBB8_499:
	s_mov_b32 s5, -1
                                        ; implicit-def: $vgpr0_vgpr1
	s_branch .LBB8_504
.LBB8_500:
	s_mov_b32 s5, -1
                                        ; implicit-def: $vgpr0_vgpr1
.LBB8_501:
	s_andn2_b32 vcc_lo, exec_lo, s5
	s_cbranch_vccnz .LBB8_503
; %bb.502:
	global_load_dword v0, v[2:3], off
	s_waitcnt vmcnt(0)
	v_cvt_f64_f32_e32 v[0:1], v0
.LBB8_503:
	s_mov_b32 s5, 0
.LBB8_504:
	s_andn2_b32 vcc_lo, exec_lo, s5
	s_cbranch_vccnz .LBB8_506
; %bb.505:
	global_load_dword v0, v[2:3], off
	s_waitcnt vmcnt(0)
	v_cvt_f32_f16_e32 v0, v0
	v_cvt_f64_f32_e32 v[0:1], v0
.LBB8_506:
	s_mov_b32 s5, 0
.LBB8_507:
	s_andn2_b32 vcc_lo, exec_lo, s5
	s_cbranch_vccnz .LBB8_518
; %bb.508:
	s_cmp_lt_i32 s4, 6
	s_cbranch_scc1 .LBB8_511
; %bb.509:
	s_cmp_gt_i32 s4, 6
	s_cbranch_scc0 .LBB8_512
; %bb.510:
	global_load_dwordx2 v[0:1], v[2:3], off
	s_mov_b32 s5, 0
	s_branch .LBB8_513
.LBB8_511:
	s_mov_b32 s5, -1
                                        ; implicit-def: $vgpr0_vgpr1
	s_branch .LBB8_516
.LBB8_512:
	s_mov_b32 s5, -1
                                        ; implicit-def: $vgpr0_vgpr1
.LBB8_513:
	s_andn2_b32 vcc_lo, exec_lo, s5
	s_cbranch_vccnz .LBB8_515
; %bb.514:
	global_load_dword v0, v[2:3], off
	s_waitcnt vmcnt(0)
	v_cvt_f64_f32_e32 v[0:1], v0
.LBB8_515:
	s_mov_b32 s5, 0
.LBB8_516:
	s_andn2_b32 vcc_lo, exec_lo, s5
	s_cbranch_vccnz .LBB8_518
; %bb.517:
	global_load_ushort v0, v[2:3], off
	s_waitcnt vmcnt(0)
	v_cvt_f32_f16_e32 v0, v0
	v_cvt_f64_f32_e32 v[0:1], v0
.LBB8_518:
	s_mov_b32 s5, 0
.LBB8_519:
	s_andn2_b32 vcc_lo, exec_lo, s5
	s_cbranch_vccnz .LBB8_539
; %bb.520:
	s_cmp_lt_i32 s4, 2
	s_cbranch_scc1 .LBB8_524
; %bb.521:
	s_cmp_lt_i32 s4, 3
	s_cbranch_scc1 .LBB8_525
; %bb.522:
	s_cmp_gt_i32 s4, 3
	s_cbranch_scc0 .LBB8_526
; %bb.523:
	global_load_dwordx2 v[0:1], v[2:3], off
	s_mov_b32 s5, 0
	s_waitcnt vmcnt(0)
	v_cvt_f64_i32_e32 v[4:5], v1
	v_cvt_f64_u32_e32 v[0:1], v0
	v_ldexp_f64 v[4:5], v[4:5], 32
	v_add_f64 v[0:1], v[4:5], v[0:1]
	s_branch .LBB8_527
.LBB8_524:
	s_mov_b32 s5, -1
                                        ; implicit-def: $vgpr0_vgpr1
	s_branch .LBB8_533
.LBB8_525:
	s_mov_b32 s5, -1
                                        ; implicit-def: $vgpr0_vgpr1
	s_branch .LBB8_530
.LBB8_526:
	s_mov_b32 s5, -1
                                        ; implicit-def: $vgpr0_vgpr1
.LBB8_527:
	s_andn2_b32 vcc_lo, exec_lo, s5
	s_cbranch_vccnz .LBB8_529
; %bb.528:
	global_load_dword v0, v[2:3], off
	s_waitcnt vmcnt(0)
	v_cvt_f64_i32_e32 v[0:1], v0
.LBB8_529:
	s_mov_b32 s5, 0
.LBB8_530:
	s_andn2_b32 vcc_lo, exec_lo, s5
	s_cbranch_vccnz .LBB8_532
; %bb.531:
	global_load_sshort v0, v[2:3], off
	s_waitcnt vmcnt(0)
	v_cvt_f64_i32_e32 v[0:1], v0
.LBB8_532:
	s_mov_b32 s5, 0
.LBB8_533:
	s_andn2_b32 vcc_lo, exec_lo, s5
	s_cbranch_vccnz .LBB8_539
; %bb.534:
	s_cmp_gt_i32 s4, 0
	s_mov_b32 s4, 0
	s_cbranch_scc0 .LBB8_536
; %bb.535:
	global_load_sbyte v0, v[2:3], off
	s_waitcnt vmcnt(0)
	v_cvt_f64_i32_e32 v[0:1], v0
	s_branch .LBB8_537
.LBB8_536:
	s_mov_b32 s4, -1
                                        ; implicit-def: $vgpr0_vgpr1
.LBB8_537:
	s_andn2_b32 vcc_lo, exec_lo, s4
	s_cbranch_vccnz .LBB8_539
; %bb.538:
	global_load_ubyte v0, v[2:3], off
	s_waitcnt vmcnt(0)
	v_cvt_f64_u32_e32 v[0:1], v0
.LBB8_539:
	s_branch .LBB8_294
.LBB8_540:
	s_mov_b32 s5, 0
	s_mov_b32 s4, s60
.LBB8_541:
                                        ; implicit-def: $vgpr42
.LBB8_542:
	s_andn2_b32 s6, s60, exec_lo
	s_and_b32 s4, s4, exec_lo
	s_andn2_b32 s7, s61, exec_lo
	s_and_b32 s8, s63, exec_lo
	s_or_b32 s64, s6, s4
	s_or_b32 s63, s7, s8
	s_orn2_b32 s4, s5, exec_lo
.LBB8_543:
	s_or_b32 exec_lo, exec_lo, s65
	s_mov_b32 s5, 0
	s_mov_b32 s6, 0
	;; [unrolled: 1-line block ×3, first 2 shown]
                                        ; implicit-def: $vgpr0_vgpr1
                                        ; implicit-def: $vgpr40
                                        ; implicit-def: $vgpr2_vgpr3
	s_and_saveexec_b32 s65, s4
	s_cbranch_execz .LBB8_920
; %bb.544:
	s_mov_b32 s7, -1
	s_mov_b32 s8, s63
	s_mov_b32 s9, s64
	s_mov_b32 s66, exec_lo
	v_cmpx_gt_i32_e64 s57, v42
	s_cbranch_execz .LBB8_819
; %bb.545:
	s_andn2_b32 vcc_lo, exec_lo, s52
	s_cbranch_vccnz .LBB8_550
; %bb.546:
	s_andn2_b32 vcc_lo, exec_lo, s58
	s_cbranch_vccnz .LBB8_551
; %bb.547:
	s_add_i32 s9, s59, 1
	s_cmp_eq_u32 s50, 2
	s_cbranch_scc1 .LBB8_552
; %bb.548:
	s_waitcnt vmcnt(0)
	v_mov_b32_e32 v0, 0
	v_mov_b32_e32 v40, 0
	;; [unrolled: 1-line block ×3, first 2 shown]
	s_and_b32 s8, s9, 28
	s_mov_b32 s10, 0
	s_mov_b64 s[4:5], s[28:29]
	s_mov_b64 s[6:7], s[48:49]
.LBB8_549:                              ; =>This Inner Loop Header: Depth=1
	s_clause 0x1
	s_load_dwordx8 s[12:19], s[4:5], 0x4
	s_load_dwordx4 s[20:23], s[4:5], 0x24
	s_load_dwordx8 s[68:75], s[6:7], 0x0
	s_add_u32 s4, s4, 48
	s_addc_u32 s5, s5, 0
	s_add_i32 s10, s10, 4
	s_add_u32 s6, s6, 32
	s_addc_u32 s7, s7, 0
	s_cmp_eq_u32 s8, s10
	s_waitcnt lgkmcnt(0)
	v_mul_hi_u32 v2, s13, v1
	v_add_nc_u32_e32 v2, v1, v2
	v_lshrrev_b32_e32 v2, s14, v2
	v_mul_hi_u32 v3, s16, v2
	v_mul_lo_u32 v5, v2, s12
	v_add_nc_u32_e32 v3, v2, v3
	v_sub_nc_u32_e32 v1, v1, v5
	v_lshrrev_b32_e32 v3, s17, v3
	v_mul_lo_u32 v5, v1, s68
	v_mul_lo_u32 v7, v1, s69
	v_mul_hi_u32 v4, s19, v3
	v_add_nc_u32_e32 v4, v3, v4
	v_lshrrev_b32_e32 v4, s20, v4
	v_mul_hi_u32 v6, s22, v4
	v_mul_lo_u32 v8, v4, s18
	v_add_nc_u32_e32 v1, v4, v6
	v_mul_lo_u32 v6, v3, s15
	v_sub_nc_u32_e32 v3, v3, v8
	v_lshrrev_b32_e32 v1, s23, v1
	v_mul_lo_u32 v8, v3, s72
	v_mul_lo_u32 v3, v3, s73
	v_sub_nc_u32_e32 v2, v2, v6
	v_mul_lo_u32 v9, v1, s21
	v_mul_lo_u32 v6, v2, s70
	;; [unrolled: 1-line block ×3, first 2 shown]
	v_sub_nc_u32_e32 v4, v4, v9
	v_add3_u32 v5, v5, v40, v6
	v_mul_lo_u32 v9, v4, s74
	v_mul_lo_u32 v4, v4, s75
	v_add3_u32 v0, v7, v0, v2
	v_add3_u32 v40, v8, v5, v9
	;; [unrolled: 1-line block ×3, first 2 shown]
	s_cbranch_scc0 .LBB8_549
	s_branch .LBB8_553
.LBB8_550:
	s_mov_b32 s4, -1
                                        ; implicit-def: $vgpr40
                                        ; implicit-def: $vgpr0
	s_branch .LBB8_557
.LBB8_551:
	v_mov_b32_e32 v40, 0
	s_waitcnt vmcnt(0)
	v_mov_b32_e32 v0, 0
	s_branch .LBB8_556
.LBB8_552:
	v_mov_b32_e32 v40, 0
	s_waitcnt vmcnt(0)
	v_mov_b32_e32 v0, 0
	v_mov_b32_e32 v1, v42
	s_mov_b32 s8, 0
.LBB8_553:
	s_and_b32 s9, s9, 3
	s_cmp_eq_u32 s9, 0
	s_cbranch_scc1 .LBB8_556
; %bb.554:
	s_lshl_b32 s4, s8, 3
	s_mul_i32 s6, s8, 12
	s_add_u32 s4, s28, s4
	s_addc_u32 s5, s29, 0
	s_add_u32 s4, s4, 0xc4
	s_addc_u32 s5, s5, 0
	;; [unrolled: 2-line block ×3, first 2 shown]
	.p2align	6
.LBB8_555:                              ; =>This Inner Loop Header: Depth=1
	s_clause 0x1
	s_load_dwordx2 s[10:11], s[6:7], 0x4
	s_load_dword s8, s[6:7], 0xc
	s_load_dwordx2 s[12:13], s[4:5], 0x0
	s_add_u32 s6, s6, 12
	s_addc_u32 s7, s7, 0
	s_add_u32 s4, s4, 8
	s_addc_u32 s5, s5, 0
	s_add_i32 s9, s9, -1
	s_cmp_lg_u32 s9, 0
	s_waitcnt lgkmcnt(0)
	v_mul_hi_u32 v2, s11, v1
	v_add_nc_u32_e32 v2, v1, v2
	v_lshrrev_b32_e32 v2, s8, v2
	v_mul_lo_u32 v3, v2, s10
	v_sub_nc_u32_e32 v1, v1, v3
	v_mad_u64_u32 v[40:41], null, v1, s12, v[40:41]
	v_mad_u64_u32 v[0:1], null, v1, s13, v[0:1]
	v_mov_b32_e32 v1, v2
	s_cbranch_scc1 .LBB8_555
.LBB8_556:
	s_mov_b32 s4, 0
.LBB8_557:
	s_andn2_b32 vcc_lo, exec_lo, s4
	s_cbranch_vccnz .LBB8_560
; %bb.558:
	s_waitcnt vmcnt(0) lgkmcnt(0)
	v_mul_hi_u32 v0, s45, v42
	s_andn2_b32 vcc_lo, exec_lo, s56
	v_add_nc_u32_e32 v0, v42, v0
	v_lshrrev_b32_e32 v1, s46, v0
	v_mul_lo_u32 v0, v1, s44
	v_sub_nc_u32_e32 v0, v42, v0
	v_mul_lo_u32 v40, v0, s40
	v_mul_lo_u32 v0, v0, s41
	s_cbranch_vccnz .LBB8_560
; %bb.559:
	v_mul_hi_u32 v2, s34, v1
	v_add_nc_u32_e32 v2, v1, v2
	v_lshrrev_b32_e32 v2, s35, v2
	v_mul_lo_u32 v2, v2, s47
	v_sub_nc_u32_e32 v1, v1, v2
	v_mad_u64_u32 v[40:41], null, v1, s42, v[40:41]
	v_mad_u64_u32 v[0:1], null, v1, s43, v[0:1]
.LBB8_560:
	s_waitcnt vmcnt(0) lgkmcnt(0)
	v_add_co_u32 v2, s4, s38, v0
	v_add_co_ci_u32_e64 v3, null, s39, 0, s4
	s_and_b32 s4, 0xffff, s55
	s_cmp_lt_i32 s4, 11
	s_cbranch_scc1 .LBB8_567
; %bb.561:
	s_cmp_gt_i32 s4, 25
	s_cbranch_scc0 .LBB8_568
; %bb.562:
	s_cmp_gt_i32 s4, 28
	s_cbranch_scc0 .LBB8_569
	;; [unrolled: 3-line block ×4, first 2 shown]
; %bb.565:
	s_cmp_eq_u32 s4, 46
	s_mov_b32 s6, 0
	s_cbranch_scc0 .LBB8_576
; %bb.566:
	global_load_dword v0, v[2:3], off
	s_mov_b32 s5, -1
	s_mov_b32 s67, 0
	s_waitcnt vmcnt(0)
	v_lshlrev_b32_e32 v0, 16, v0
	v_cvt_f64_f32_e32 v[0:1], v0
	s_branch .LBB8_578
.LBB8_567:
	s_mov_b32 s6, -1
	s_mov_b32 s5, 0
	s_mov_b32 s67, s63
                                        ; implicit-def: $vgpr0_vgpr1
	s_branch .LBB8_643
.LBB8_568:
	s_mov_b32 s6, -1
	s_mov_b32 s5, 0
	s_mov_b32 s67, s63
                                        ; implicit-def: $vgpr0_vgpr1
	s_branch .LBB8_609
.LBB8_569:
	s_mov_b32 s6, -1
	s_mov_b32 s5, 0
	s_mov_b32 s67, s63
                                        ; implicit-def: $vgpr0_vgpr1
	s_branch .LBB8_588
.LBB8_570:
	s_mov_b32 s6, -1
	s_mov_b32 s5, 0
	s_mov_b32 s67, s63
                                        ; implicit-def: $vgpr0_vgpr1
	s_branch .LBB8_583
.LBB8_571:
	s_andn2_saveexec_b32 s9, s9
	s_cbranch_execz .LBB8_340
.LBB8_572:
	v_add_f32_e64 v3, 0x46000000, |v2|
	s_andn2_b32 s8, s8, exec_lo
	v_and_b32_e32 v3, 0xff, v3
	v_cmp_ne_u32_e32 vcc_lo, 0, v3
	s_and_b32 s10, vcc_lo, exec_lo
	s_or_b32 s8, s8, s10
	s_or_b32 exec_lo, exec_lo, s9
	v_mov_b32_e32 v6, 0
	s_and_saveexec_b32 s9, s8
	s_cbranch_execnz .LBB8_341
	s_branch .LBB8_342
.LBB8_573:
	s_mov_b32 s6, -1
	s_mov_b32 s5, 0
	s_mov_b32 s67, s63
	s_branch .LBB8_577
.LBB8_574:
	s_andn2_saveexec_b32 s9, s9
	s_cbranch_execz .LBB8_353
.LBB8_575:
	v_add_f32_e64 v3, 0x42800000, |v2|
	s_andn2_b32 s8, s8, exec_lo
	v_and_b32_e32 v3, 0xff, v3
	v_cmp_ne_u32_e32 vcc_lo, 0, v3
	s_and_b32 s10, vcc_lo, exec_lo
	s_or_b32 s8, s8, s10
	s_or_b32 exec_lo, exec_lo, s9
	v_mov_b32_e32 v6, 0
	s_and_saveexec_b32 s9, s8
	s_cbranch_execnz .LBB8_354
	s_branch .LBB8_355
.LBB8_576:
	s_mov_b32 s67, -1
	s_mov_b32 s5, 0
.LBB8_577:
                                        ; implicit-def: $vgpr0_vgpr1
.LBB8_578:
	s_and_b32 vcc_lo, exec_lo, s6
	s_cbranch_vccz .LBB8_582
; %bb.579:
	s_cmp_eq_u32 s4, 44
	s_cbranch_scc0 .LBB8_581
; %bb.580:
	global_load_ubyte v4, v[2:3], off
	s_mov_b32 s67, 0
	s_mov_b32 s5, -1
	s_waitcnt vmcnt(0)
	v_lshlrev_b32_e32 v0, 23, v4
	v_cmp_ne_u32_e32 vcc_lo, 0xff, v4
	v_cvt_f64_f32_e32 v[0:1], v0
	v_cndmask_b32_e32 v0, 0x20000000, v0, vcc_lo
	v_cndmask_b32_e32 v1, 0x7ff80000, v1, vcc_lo
	v_cmp_ne_u32_e32 vcc_lo, 0, v4
	v_cndmask_b32_e32 v1, 0x38000000, v1, vcc_lo
	v_cndmask_b32_e32 v0, 0, v0, vcc_lo
	s_branch .LBB8_582
.LBB8_581:
	s_mov_b32 s67, -1
                                        ; implicit-def: $vgpr0_vgpr1
.LBB8_582:
	s_mov_b32 s6, 0
.LBB8_583:
	s_and_b32 vcc_lo, exec_lo, s6
	s_cbranch_vccz .LBB8_587
; %bb.584:
	s_cmp_eq_u32 s4, 29
	s_cbranch_scc0 .LBB8_586
; %bb.585:
	global_load_dwordx2 v[0:1], v[2:3], off
	s_mov_b32 s5, -1
	s_mov_b32 s67, 0
	s_mov_b32 s6, 0
	s_waitcnt vmcnt(0)
	v_cvt_f64_u32_e32 v[4:5], v1
	v_cvt_f64_u32_e32 v[0:1], v0
	v_ldexp_f64 v[4:5], v[4:5], 32
	v_add_f64 v[0:1], v[4:5], v[0:1]
	s_branch .LBB8_588
.LBB8_586:
	s_mov_b32 s67, -1
                                        ; implicit-def: $vgpr0_vgpr1
.LBB8_587:
	s_mov_b32 s6, 0
.LBB8_588:
	s_and_b32 vcc_lo, exec_lo, s6
	s_cbranch_vccz .LBB8_608
; %bb.589:
	s_cmp_lt_i32 s4, 27
	s_cbranch_scc1 .LBB8_592
; %bb.590:
	s_cmp_gt_i32 s4, 27
	s_cbranch_scc0 .LBB8_593
; %bb.591:
	global_load_dword v0, v[2:3], off
	s_mov_b32 s5, 0
	s_waitcnt vmcnt(0)
	v_cvt_f64_u32_e32 v[0:1], v0
	s_branch .LBB8_594
.LBB8_592:
	s_mov_b32 s5, -1
                                        ; implicit-def: $vgpr0_vgpr1
	s_branch .LBB8_597
.LBB8_593:
	s_mov_b32 s5, -1
                                        ; implicit-def: $vgpr0_vgpr1
.LBB8_594:
	s_andn2_b32 vcc_lo, exec_lo, s5
	s_cbranch_vccnz .LBB8_596
; %bb.595:
	global_load_ushort v0, v[2:3], off
	s_waitcnt vmcnt(0)
	v_cvt_f64_u32_e32 v[0:1], v0
.LBB8_596:
	s_mov_b32 s5, 0
.LBB8_597:
	s_andn2_b32 vcc_lo, exec_lo, s5
	s_cbranch_vccnz .LBB8_607
; %bb.598:
	global_load_ubyte v4, v[2:3], off
	s_mov_b32 s5, 0
	s_mov_b32 s6, exec_lo
	s_waitcnt vmcnt(0)
	v_cmpx_lt_i16_e32 0x7f, v4
	s_xor_b32 s6, exec_lo, s6
	s_cbranch_execz .LBB8_602
; %bb.599:
	s_mov_b32 s5, -1
	s_mov_b32 s7, exec_lo
	v_cmpx_eq_u16_e32 0x80, v4
; %bb.600:
	s_xor_b32 s5, exec_lo, -1
; %bb.601:
	s_or_b32 exec_lo, exec_lo, s7
	s_and_b32 s5, s5, exec_lo
.LBB8_602:
	s_or_saveexec_b32 s6, s6
	v_bfrev_b32_e32 v0, 4
	v_mov_b32_e32 v1, 0x7ff80000
	s_xor_b32 exec_lo, exec_lo, s6
; %bb.603:
	v_cmp_ne_u16_e32 vcc_lo, 0, v4
	v_mov_b32_e32 v0, 0
	v_mov_b32_e32 v1, 0
	s_andn2_b32 s5, s5, exec_lo
	s_and_b32 s7, vcc_lo, exec_lo
	s_or_b32 s5, s5, s7
; %bb.604:
	s_or_b32 exec_lo, exec_lo, s6
	s_and_saveexec_b32 s6, s5
	s_cbranch_execz .LBB8_606
; %bb.605:
	v_and_b32_e32 v0, 0xffff, v4
	v_lshlrev_b32_e32 v4, 24, v4
	v_and_b32_e32 v1, 7, v0
	v_bfe_u32 v7, v0, 3, 4
	v_ffbh_u32_e32 v5, v1
	v_cmp_eq_u32_e32 vcc_lo, 0, v7
	v_min_u32_e32 v5, 32, v5
	v_subrev_nc_u32_e32 v6, 28, v5
	v_sub_nc_u32_e32 v5, 29, v5
	v_lshlrev_b32_e32 v0, v6, v0
	v_cndmask_b32_e32 v5, v7, v5, vcc_lo
	v_and_b32_e32 v0, 7, v0
	v_cndmask_b32_e32 v0, v1, v0, vcc_lo
	v_and_b32_e32 v1, 0x80000000, v4
	v_lshl_add_u32 v4, v5, 23, 0x3b800000
	v_lshlrev_b32_e32 v0, 20, v0
	v_or3_b32 v0, v1, v4, v0
	v_cvt_f64_f32_e32 v[0:1], v0
.LBB8_606:
	s_or_b32 exec_lo, exec_lo, s6
.LBB8_607:
	s_mov_b32 s5, -1
.LBB8_608:
	s_mov_b32 s6, 0
.LBB8_609:
	s_and_b32 vcc_lo, exec_lo, s6
	s_cbranch_vccz .LBB8_642
; %bb.610:
	s_cmp_gt_i32 s4, 22
	s_cbranch_scc0 .LBB8_622
; %bb.611:
	s_cmp_lt_i32 s4, 24
	s_cbranch_scc1 .LBB8_623
; %bb.612:
	s_cmp_gt_i32 s4, 24
	s_cbranch_scc0 .LBB8_624
; %bb.613:
	global_load_ubyte v4, v[2:3], off
	s_mov_b32 s5, 0
	s_mov_b32 s6, exec_lo
	s_waitcnt vmcnt(0)
	v_cmpx_lt_i16_e32 0x7f, v4
	s_xor_b32 s6, exec_lo, s6
	s_cbranch_execz .LBB8_617
; %bb.614:
	s_mov_b32 s5, -1
	s_mov_b32 s7, exec_lo
	v_cmpx_eq_u16_e32 0x80, v4
; %bb.615:
	s_xor_b32 s5, exec_lo, -1
; %bb.616:
	s_or_b32 exec_lo, exec_lo, s7
	s_and_b32 s5, s5, exec_lo
.LBB8_617:
	s_or_saveexec_b32 s6, s6
	v_bfrev_b32_e32 v0, 4
	v_mov_b32_e32 v1, 0x7ff80000
	s_xor_b32 exec_lo, exec_lo, s6
; %bb.618:
	v_cmp_ne_u16_e32 vcc_lo, 0, v4
	v_mov_b32_e32 v0, 0
	v_mov_b32_e32 v1, 0
	s_andn2_b32 s5, s5, exec_lo
	s_and_b32 s7, vcc_lo, exec_lo
	s_or_b32 s5, s5, s7
; %bb.619:
	s_or_b32 exec_lo, exec_lo, s6
	s_and_saveexec_b32 s6, s5
	s_cbranch_execz .LBB8_621
; %bb.620:
	v_and_b32_e32 v0, 0xffff, v4
	v_lshlrev_b32_e32 v4, 24, v4
	v_and_b32_e32 v1, 3, v0
	v_bfe_u32 v7, v0, 2, 5
	v_ffbh_u32_e32 v5, v1
	v_cmp_eq_u32_e32 vcc_lo, 0, v7
	v_min_u32_e32 v5, 32, v5
	v_subrev_nc_u32_e32 v6, 29, v5
	v_sub_nc_u32_e32 v5, 30, v5
	v_lshlrev_b32_e32 v0, v6, v0
	v_cndmask_b32_e32 v5, v7, v5, vcc_lo
	v_and_b32_e32 v0, 3, v0
	v_cndmask_b32_e32 v0, v1, v0, vcc_lo
	v_and_b32_e32 v1, 0x80000000, v4
	v_lshl_add_u32 v4, v5, 23, 0x37800000
	v_lshlrev_b32_e32 v0, 21, v0
	v_or3_b32 v0, v1, v4, v0
	v_cvt_f64_f32_e32 v[0:1], v0
.LBB8_621:
	s_or_b32 exec_lo, exec_lo, s6
	s_mov_b32 s5, 0
	s_branch .LBB8_625
.LBB8_622:
	s_mov_b32 s6, -1
                                        ; implicit-def: $vgpr0_vgpr1
	s_branch .LBB8_631
.LBB8_623:
	s_mov_b32 s5, -1
                                        ; implicit-def: $vgpr0_vgpr1
	s_branch .LBB8_628
.LBB8_624:
	s_mov_b32 s5, -1
                                        ; implicit-def: $vgpr0_vgpr1
.LBB8_625:
	s_and_b32 vcc_lo, exec_lo, s5
	s_cbranch_vccz .LBB8_627
; %bb.626:
	global_load_ubyte v0, v[2:3], off
	s_waitcnt vmcnt(0)
	v_lshlrev_b32_e32 v0, 24, v0
	v_and_b32_e32 v1, 0x7f000000, v0
	v_ffbh_u32_e32 v4, v1
	v_add_nc_u32_e32 v6, 0x1000000, v1
	v_cmp_ne_u32_e32 vcc_lo, 0, v1
	v_min_u32_e32 v4, 32, v4
	v_sub_nc_u32_e64 v4, v4, 4 clamp
	v_lshlrev_b32_e32 v5, v4, v1
	v_lshlrev_b32_e32 v4, 23, v4
	v_lshrrev_b32_e32 v5, 4, v5
	v_sub_nc_u32_e32 v4, v5, v4
	v_ashrrev_i32_e32 v5, 8, v6
	v_add_nc_u32_e32 v4, 0x3c000000, v4
	v_and_or_b32 v4, 0x7f800000, v5, v4
	v_cndmask_b32_e32 v1, 0, v4, vcc_lo
	v_and_or_b32 v0, 0x80000000, v0, v1
	v_cvt_f64_f32_e32 v[0:1], v0
.LBB8_627:
	s_mov_b32 s5, 0
.LBB8_628:
	s_andn2_b32 vcc_lo, exec_lo, s5
	s_cbranch_vccnz .LBB8_630
; %bb.629:
	global_load_ubyte v0, v[2:3], off
	s_waitcnt vmcnt(0)
	v_lshlrev_b32_e32 v1, 25, v0
	v_lshlrev_b16 v0, 8, v0
	v_lshrrev_b32_e32 v4, 4, v1
	v_and_or_b32 v5, 0x7f00, v0, 0.5
	v_cmp_gt_u32_e32 vcc_lo, 0x8000000, v1
	v_bfe_i32 v0, v0, 0, 16
	v_or_b32_e32 v4, 0x70000000, v4
	v_add_f32_e32 v5, -0.5, v5
	v_mul_f32_e32 v4, 0x7800000, v4
	v_cndmask_b32_e32 v1, v4, v5, vcc_lo
	v_and_or_b32 v0, 0x80000000, v0, v1
	v_cvt_f64_f32_e32 v[0:1], v0
.LBB8_630:
	s_mov_b32 s6, 0
	s_mov_b32 s5, -1
.LBB8_631:
	s_andn2_b32 vcc_lo, exec_lo, s6
	s_cbranch_vccnz .LBB8_642
; %bb.632:
	s_cmp_gt_i32 s4, 14
	s_cbranch_scc0 .LBB8_635
; %bb.633:
	s_cmp_eq_u32 s4, 15
	s_cbranch_scc0 .LBB8_636
; %bb.634:
	global_load_ushort v0, v[2:3], off
	s_mov_b32 s5, -1
	s_mov_b32 s67, 0
	s_waitcnt vmcnt(0)
	v_lshlrev_b32_e32 v0, 16, v0
	v_cvt_f64_f32_e32 v[0:1], v0
	s_branch .LBB8_637
.LBB8_635:
	s_mov_b32 s6, -1
                                        ; implicit-def: $vgpr0_vgpr1
	s_branch .LBB8_638
.LBB8_636:
	s_mov_b32 s67, -1
                                        ; implicit-def: $vgpr0_vgpr1
.LBB8_637:
	s_mov_b32 s6, 0
.LBB8_638:
	s_and_b32 vcc_lo, exec_lo, s6
	s_cbranch_vccz .LBB8_642
; %bb.639:
	s_cmp_eq_u32 s4, 11
	s_cbranch_scc0 .LBB8_641
; %bb.640:
	global_load_ubyte v0, v[2:3], off
	s_mov_b32 s67, 0
	s_mov_b32 s5, -1
	s_waitcnt vmcnt(0)
	v_cmp_ne_u16_e32 vcc_lo, 0, v0
	v_mov_b32_e32 v0, 0
	v_cndmask_b32_e64 v1, 0, 0x3ff00000, vcc_lo
	s_branch .LBB8_642
.LBB8_641:
	s_mov_b32 s67, -1
                                        ; implicit-def: $vgpr0_vgpr1
.LBB8_642:
	s_mov_b32 s6, 0
.LBB8_643:
	s_and_b32 vcc_lo, exec_lo, s6
	s_cbranch_vccz .LBB8_692
; %bb.644:
	s_cmp_lt_i32 s4, 5
	s_cbranch_scc1 .LBB8_649
; %bb.645:
	s_cmp_lt_i32 s4, 8
	s_cbranch_scc1 .LBB8_650
; %bb.646:
	s_cmp_lt_i32 s4, 9
	s_cbranch_scc1 .LBB8_651
; %bb.647:
	s_cmp_gt_i32 s4, 9
	s_cbranch_scc0 .LBB8_652
; %bb.648:
	global_load_dwordx2 v[0:1], v[2:3], off
	s_mov_b32 s5, 0
	s_branch .LBB8_653
.LBB8_649:
	s_mov_b32 s5, -1
                                        ; implicit-def: $vgpr0_vgpr1
	s_branch .LBB8_671
.LBB8_650:
	s_mov_b32 s5, -1
                                        ; implicit-def: $vgpr0_vgpr1
	s_branch .LBB8_659
.LBB8_651:
	s_mov_b32 s5, -1
                                        ; implicit-def: $vgpr0_vgpr1
	s_branch .LBB8_656
.LBB8_652:
	s_mov_b32 s5, -1
                                        ; implicit-def: $vgpr0_vgpr1
.LBB8_653:
	s_andn2_b32 vcc_lo, exec_lo, s5
	s_cbranch_vccnz .LBB8_655
; %bb.654:
	global_load_dword v0, v[2:3], off
	s_waitcnt vmcnt(0)
	v_cvt_f64_f32_e32 v[0:1], v0
.LBB8_655:
	s_mov_b32 s5, 0
.LBB8_656:
	s_andn2_b32 vcc_lo, exec_lo, s5
	s_cbranch_vccnz .LBB8_658
; %bb.657:
	global_load_dword v0, v[2:3], off
	s_waitcnt vmcnt(0)
	v_cvt_f32_f16_e32 v0, v0
	v_cvt_f64_f32_e32 v[0:1], v0
.LBB8_658:
	s_mov_b32 s5, 0
.LBB8_659:
	s_andn2_b32 vcc_lo, exec_lo, s5
	s_cbranch_vccnz .LBB8_670
; %bb.660:
	s_cmp_lt_i32 s4, 6
	s_cbranch_scc1 .LBB8_663
; %bb.661:
	s_cmp_gt_i32 s4, 6
	s_cbranch_scc0 .LBB8_664
; %bb.662:
	global_load_dwordx2 v[0:1], v[2:3], off
	s_mov_b32 s5, 0
	s_branch .LBB8_665
.LBB8_663:
	s_mov_b32 s5, -1
                                        ; implicit-def: $vgpr0_vgpr1
	s_branch .LBB8_668
.LBB8_664:
	s_mov_b32 s5, -1
                                        ; implicit-def: $vgpr0_vgpr1
.LBB8_665:
	s_andn2_b32 vcc_lo, exec_lo, s5
	s_cbranch_vccnz .LBB8_667
; %bb.666:
	global_load_dword v0, v[2:3], off
	s_waitcnt vmcnt(0)
	v_cvt_f64_f32_e32 v[0:1], v0
.LBB8_667:
	s_mov_b32 s5, 0
.LBB8_668:
	s_andn2_b32 vcc_lo, exec_lo, s5
	s_cbranch_vccnz .LBB8_670
; %bb.669:
	global_load_ushort v0, v[2:3], off
	s_waitcnt vmcnt(0)
	v_cvt_f32_f16_e32 v0, v0
	v_cvt_f64_f32_e32 v[0:1], v0
.LBB8_670:
	s_mov_b32 s5, 0
.LBB8_671:
	s_andn2_b32 vcc_lo, exec_lo, s5
	s_cbranch_vccnz .LBB8_691
; %bb.672:
	s_cmp_lt_i32 s4, 2
	s_cbranch_scc1 .LBB8_676
; %bb.673:
	s_cmp_lt_i32 s4, 3
	s_cbranch_scc1 .LBB8_677
; %bb.674:
	s_cmp_gt_i32 s4, 3
	s_cbranch_scc0 .LBB8_678
; %bb.675:
	global_load_dwordx2 v[0:1], v[2:3], off
	s_mov_b32 s5, 0
	s_waitcnt vmcnt(0)
	v_cvt_f64_i32_e32 v[4:5], v1
	v_cvt_f64_u32_e32 v[0:1], v0
	v_ldexp_f64 v[4:5], v[4:5], 32
	v_add_f64 v[0:1], v[4:5], v[0:1]
	s_branch .LBB8_679
.LBB8_676:
	s_mov_b32 s5, -1
                                        ; implicit-def: $vgpr0_vgpr1
	s_branch .LBB8_685
.LBB8_677:
	s_mov_b32 s5, -1
                                        ; implicit-def: $vgpr0_vgpr1
	s_branch .LBB8_682
.LBB8_678:
	s_mov_b32 s5, -1
                                        ; implicit-def: $vgpr0_vgpr1
.LBB8_679:
	s_andn2_b32 vcc_lo, exec_lo, s5
	s_cbranch_vccnz .LBB8_681
; %bb.680:
	global_load_dword v0, v[2:3], off
	s_waitcnt vmcnt(0)
	v_cvt_f64_i32_e32 v[0:1], v0
.LBB8_681:
	s_mov_b32 s5, 0
.LBB8_682:
	s_andn2_b32 vcc_lo, exec_lo, s5
	s_cbranch_vccnz .LBB8_684
; %bb.683:
	global_load_sshort v0, v[2:3], off
	s_waitcnt vmcnt(0)
	v_cvt_f64_i32_e32 v[0:1], v0
.LBB8_684:
	s_mov_b32 s5, 0
.LBB8_685:
	s_andn2_b32 vcc_lo, exec_lo, s5
	s_cbranch_vccnz .LBB8_691
; %bb.686:
	s_cmp_gt_i32 s4, 0
	s_mov_b32 s4, 0
	s_cbranch_scc0 .LBB8_688
; %bb.687:
	global_load_sbyte v0, v[2:3], off
	s_waitcnt vmcnt(0)
	v_cvt_f64_i32_e32 v[0:1], v0
	s_branch .LBB8_689
.LBB8_688:
	s_mov_b32 s4, -1
                                        ; implicit-def: $vgpr0_vgpr1
.LBB8_689:
	s_andn2_b32 vcc_lo, exec_lo, s4
	s_cbranch_vccnz .LBB8_691
; %bb.690:
	global_load_ubyte v0, v[2:3], off
	s_waitcnt vmcnt(0)
	v_cvt_f64_u32_e32 v[0:1], v0
.LBB8_691:
	s_mov_b32 s5, -1
.LBB8_692:
	s_andn2_b32 vcc_lo, exec_lo, s5
	s_cbranch_vccnz .LBB8_700
; %bb.693:
	s_getpc_b64 s[4:5]
	s_add_u32 s4, s4, _ZZZZN2at6native12_GLOBAL__N_121bessel_j1_kernel_cudaERNS_18TensorIteratorBaseEENKUlvE_clEvENKUlvE_clEvENKUldE_clEd@rel32@lo+4
	s_addc_u32 s5, s5, _ZZZZN2at6native12_GLOBAL__N_121bessel_j1_kernel_cudaERNS_18TensorIteratorBaseEENKUlvE_clEvENKUlvE_clEvENKUldE_clEd@rel32@hi+12
	s_swappc_b64 s[30:31], s[4:5]
	v_add_co_u32 v4, s4, s36, v40
	v_add_co_ci_u32_e64 v5, null, s37, 0, s4
	s_and_b32 s5, s54, 0xff
	s_cmp_lt_i32 s5, 11
	s_cbranch_scc1 .LBB8_701
; %bb.694:
	s_and_b32 s6, 0xffff, s5
	s_cmp_gt_i32 s6, 25
	s_cbranch_scc0 .LBB8_702
; %bb.695:
	s_cmp_gt_i32 s6, 28
	s_cbranch_scc0 .LBB8_703
; %bb.696:
	;; [unrolled: 3-line block ×4, first 2 shown]
	s_mov_b32 s8, 0
	s_mov_b32 s4, -1
	s_cmp_eq_u32 s6, 46
	s_mov_b32 s7, 0
	s_cbranch_scc0 .LBB8_706
; %bb.699:
	v_cvt_f32_f64_e32 v2, v[0:1]
	s_mov_b32 s7, -1
	s_mov_b32 s4, 0
	v_bfe_u32 v3, v2, 16, 1
	v_cmp_o_f32_e32 vcc_lo, v2, v2
	v_add3_u32 v2, v2, v3, 0x7fff
	v_mov_b32_e32 v3, 0x7fc0
	v_cndmask_b32_sdwa v2, v3, v2, vcc_lo dst_sel:DWORD dst_unused:UNUSED_PAD src0_sel:DWORD src1_sel:WORD_1
	global_store_dword v[4:5], v2, off
	s_branch .LBB8_706
.LBB8_700:
	s_mov_b32 s5, 0
	s_mov_b32 s4, s64
	s_branch .LBB8_817
.LBB8_701:
	s_mov_b32 s6, -1
	s_mov_b32 s7, 0
	s_mov_b32 s4, s64
	s_branch .LBB8_775
.LBB8_702:
	s_mov_b32 s8, -1
	s_mov_b32 s7, 0
	s_mov_b32 s4, s64
	s_branch .LBB8_733
.LBB8_703:
	s_mov_b32 s8, -1
	s_mov_b32 s7, 0
	s_mov_b32 s4, s64
	s_branch .LBB8_716
.LBB8_704:
	s_mov_b32 s8, -1
	s_mov_b32 s7, 0
	s_mov_b32 s4, s64
	s_branch .LBB8_712
.LBB8_705:
	s_mov_b32 s8, -1
	s_mov_b32 s7, 0
	s_mov_b32 s4, s64
.LBB8_706:
	s_and_b32 vcc_lo, exec_lo, s8
	s_cbranch_vccz .LBB8_711
; %bb.707:
	s_cmp_eq_u32 s6, 44
	s_mov_b32 s4, -1
	s_cbranch_scc0 .LBB8_711
; %bb.708:
	v_cvt_f32_f64_e32 v2, v[0:1]
	v_mov_b32_e32 v3, 0xff
	s_mov_b32 s7, exec_lo
	v_bfe_u32 v6, v2, 23, 8
	v_cmpx_ne_u32_e32 0xff, v6
	s_cbranch_execz .LBB8_710
; %bb.709:
	v_and_b32_e32 v3, 0x400000, v2
	v_and_or_b32 v6, 0x3fffff, v2, v6
	v_lshrrev_b32_e32 v2, 23, v2
	v_cmp_ne_u32_e32 vcc_lo, 0, v3
	v_cmp_ne_u32_e64 s4, 0, v6
	s_and_b32 s4, vcc_lo, s4
	v_cndmask_b32_e64 v3, 0, 1, s4
	v_add_nc_u32_e32 v3, v2, v3
.LBB8_710:
	s_or_b32 exec_lo, exec_lo, s7
	s_mov_b32 s7, -1
	s_mov_b32 s4, 0
	global_store_byte v[4:5], v3, off
.LBB8_711:
	s_mov_b32 s8, 0
.LBB8_712:
	s_and_b32 vcc_lo, exec_lo, s8
	s_cbranch_vccz .LBB8_715
; %bb.713:
	s_cmp_eq_u32 s6, 29
	s_mov_b32 s4, -1
	s_cbranch_scc0 .LBB8_715
; %bb.714:
	v_trunc_f64_e32 v[2:3], v[0:1]
	s_mov_b32 s7, -1
	s_mov_b32 s4, 0
	s_mov_b32 s8, 0
	v_ldexp_f64 v[6:7], v[2:3], 0xffffffe0
	v_floor_f64_e32 v[6:7], v[6:7]
	v_fma_f64 v[2:3], 0xc1f00000, v[6:7], v[2:3]
	v_cvt_u32_f64_e32 v7, v[6:7]
	v_cvt_u32_f64_e32 v6, v[2:3]
	global_store_dwordx2 v[4:5], v[6:7], off
	s_branch .LBB8_716
.LBB8_715:
	s_mov_b32 s8, 0
.LBB8_716:
	s_and_b32 vcc_lo, exec_lo, s8
	s_cbranch_vccz .LBB8_732
; %bb.717:
	s_cmp_lt_i32 s6, 27
	s_mov_b32 s7, -1
	s_cbranch_scc1 .LBB8_723
; %bb.718:
	v_cvt_u32_f64_e32 v2, v[0:1]
	s_cmp_gt_i32 s6, 27
	s_cbranch_scc0 .LBB8_720
; %bb.719:
	s_mov_b32 s7, 0
	global_store_dword v[4:5], v2, off
.LBB8_720:
	s_andn2_b32 vcc_lo, exec_lo, s7
	s_cbranch_vccnz .LBB8_722
; %bb.721:
	global_store_short v[4:5], v2, off
.LBB8_722:
	s_mov_b32 s7, 0
.LBB8_723:
	s_andn2_b32 vcc_lo, exec_lo, s7
	s_cbranch_vccnz .LBB8_731
; %bb.724:
	v_cvt_f32_f64_e32 v2, v[0:1]
	v_mov_b32_e32 v6, 0x80
	s_mov_b32 s7, exec_lo
	v_and_b32_e32 v3, 0x7fffffff, v2
	v_cmpx_gt_u32_e32 0x43800000, v3
	s_cbranch_execz .LBB8_730
; %bb.725:
	v_cmp_lt_u32_e32 vcc_lo, 0x3bffffff, v3
	s_mov_b32 s8, 0
                                        ; implicit-def: $vgpr3
	s_and_saveexec_b32 s9, vcc_lo
	s_xor_b32 s9, exec_lo, s9
	s_cbranch_execz .LBB8_847
; %bb.726:
	v_bfe_u32 v3, v2, 20, 1
	s_mov_b32 s8, exec_lo
	v_add3_u32 v3, v2, v3, 0x487ffff
	v_lshrrev_b32_e32 v3, 20, v3
	s_andn2_saveexec_b32 s9, s9
	s_cbranch_execnz .LBB8_848
.LBB8_727:
	s_or_b32 exec_lo, exec_lo, s9
	v_mov_b32_e32 v6, 0
	s_and_saveexec_b32 s9, s8
.LBB8_728:
	v_lshrrev_b32_e32 v2, 24, v2
	v_and_or_b32 v6, 0x80, v2, v3
.LBB8_729:
	s_or_b32 exec_lo, exec_lo, s9
.LBB8_730:
	s_or_b32 exec_lo, exec_lo, s7
	global_store_byte v[4:5], v6, off
.LBB8_731:
	s_mov_b32 s7, -1
.LBB8_732:
	s_mov_b32 s8, 0
.LBB8_733:
	s_and_b32 vcc_lo, exec_lo, s8
	s_cbranch_vccz .LBB8_774
; %bb.734:
	s_cmp_gt_i32 s6, 22
	s_mov_b32 s8, -1
	s_cbranch_scc0 .LBB8_766
; %bb.735:
	s_cmp_lt_i32 s6, 24
	s_mov_b32 s7, -1
	s_cbranch_scc1 .LBB8_755
; %bb.736:
	s_cmp_gt_i32 s6, 24
	s_cbranch_scc0 .LBB8_744
; %bb.737:
	v_cvt_f32_f64_e32 v2, v[0:1]
	v_mov_b32_e32 v6, 0x80
	s_mov_b32 s7, exec_lo
	v_and_b32_e32 v3, 0x7fffffff, v2
	v_cmpx_gt_u32_e32 0x47800000, v3
	s_cbranch_execz .LBB8_743
; %bb.738:
	v_cmp_lt_u32_e32 vcc_lo, 0x37ffffff, v3
	s_mov_b32 s8, 0
                                        ; implicit-def: $vgpr3
	s_and_saveexec_b32 s9, vcc_lo
	s_xor_b32 s9, exec_lo, s9
	s_cbranch_execz .LBB8_850
; %bb.739:
	v_bfe_u32 v3, v2, 21, 1
	s_mov_b32 s8, exec_lo
	v_add3_u32 v3, v2, v3, 0x88fffff
	v_lshrrev_b32_e32 v3, 21, v3
	s_andn2_saveexec_b32 s9, s9
	s_cbranch_execnz .LBB8_851
.LBB8_740:
	s_or_b32 exec_lo, exec_lo, s9
	v_mov_b32_e32 v6, 0
	s_and_saveexec_b32 s9, s8
.LBB8_741:
	v_lshrrev_b32_e32 v2, 24, v2
	v_and_or_b32 v6, 0x80, v2, v3
.LBB8_742:
	s_or_b32 exec_lo, exec_lo, s9
.LBB8_743:
	s_or_b32 exec_lo, exec_lo, s7
	s_mov_b32 s7, 0
	global_store_byte v[4:5], v6, off
.LBB8_744:
	s_and_b32 vcc_lo, exec_lo, s7
	s_cbranch_vccz .LBB8_754
; %bb.745:
	v_cvt_f32_f64_e32 v2, v[0:1]
	s_mov_b32 s7, exec_lo
                                        ; implicit-def: $vgpr3
	v_and_b32_e32 v6, 0x7fffffff, v2
	v_cmpx_gt_u32_e32 0x43f00000, v6
	s_xor_b32 s7, exec_lo, s7
	s_cbranch_execz .LBB8_751
; %bb.746:
	s_mov_b32 s8, exec_lo
                                        ; implicit-def: $vgpr3
	v_cmpx_lt_u32_e32 0x3c7fffff, v6
	s_xor_b32 s8, exec_lo, s8
; %bb.747:
	v_bfe_u32 v3, v2, 20, 1
	v_add3_u32 v3, v2, v3, 0x407ffff
	v_and_b32_e32 v6, 0xff00000, v3
	v_lshrrev_b32_e32 v3, 20, v3
	v_cmp_ne_u32_e32 vcc_lo, 0x7f00000, v6
	v_cndmask_b32_e32 v3, 0x7e, v3, vcc_lo
; %bb.748:
	s_andn2_saveexec_b32 s8, s8
; %bb.749:
	v_add_f32_e64 v3, 0x46800000, |v2|
; %bb.750:
	s_or_b32 exec_lo, exec_lo, s8
                                        ; implicit-def: $vgpr6
.LBB8_751:
	s_andn2_saveexec_b32 s7, s7
; %bb.752:
	v_mov_b32_e32 v3, 0x7f
	v_cmp_lt_u32_e32 vcc_lo, 0x7f800000, v6
	v_cndmask_b32_e32 v3, 0x7e, v3, vcc_lo
; %bb.753:
	s_or_b32 exec_lo, exec_lo, s7
	v_lshrrev_b32_e32 v2, 24, v2
	v_and_or_b32 v2, 0x80, v2, v3
	global_store_byte v[4:5], v2, off
.LBB8_754:
	s_mov_b32 s7, 0
.LBB8_755:
	s_andn2_b32 vcc_lo, exec_lo, s7
	s_cbranch_vccnz .LBB8_765
; %bb.756:
	v_cvt_f32_f64_e32 v2, v[0:1]
	s_mov_b32 s7, exec_lo
                                        ; implicit-def: $vgpr3
	v_and_b32_e32 v6, 0x7fffffff, v2
	v_cmpx_gt_u32_e32 0x47800000, v6
	s_xor_b32 s7, exec_lo, s7
	s_cbranch_execz .LBB8_762
; %bb.757:
	s_mov_b32 s8, exec_lo
                                        ; implicit-def: $vgpr3
	v_cmpx_lt_u32_e32 0x387fffff, v6
	s_xor_b32 s8, exec_lo, s8
; %bb.758:
	v_bfe_u32 v3, v2, 21, 1
	v_add3_u32 v3, v2, v3, 0x80fffff
	v_lshrrev_b32_e32 v3, 21, v3
; %bb.759:
	s_andn2_saveexec_b32 s8, s8
; %bb.760:
	v_add_f32_e64 v3, 0x43000000, |v2|
; %bb.761:
	s_or_b32 exec_lo, exec_lo, s8
                                        ; implicit-def: $vgpr6
.LBB8_762:
	s_andn2_saveexec_b32 s7, s7
; %bb.763:
	v_mov_b32_e32 v3, 0x7f
	v_cmp_lt_u32_e32 vcc_lo, 0x7f800000, v6
	v_cndmask_b32_e32 v3, 0x7c, v3, vcc_lo
; %bb.764:
	s_or_b32 exec_lo, exec_lo, s7
	v_lshrrev_b32_e32 v2, 24, v2
	v_and_or_b32 v2, 0x80, v2, v3
	global_store_byte v[4:5], v2, off
.LBB8_765:
	s_mov_b32 s8, 0
	s_mov_b32 s7, -1
.LBB8_766:
	s_andn2_b32 vcc_lo, exec_lo, s8
	s_cbranch_vccnz .LBB8_774
; %bb.767:
	s_cmp_gt_i32 s6, 14
	s_mov_b32 s8, -1
	s_cbranch_scc0 .LBB8_771
; %bb.768:
	s_cmp_eq_u32 s6, 15
	s_mov_b32 s4, -1
	s_cbranch_scc0 .LBB8_770
; %bb.769:
	v_cvt_f32_f64_e32 v2, v[0:1]
	s_mov_b32 s7, -1
	s_mov_b32 s4, 0
	v_bfe_u32 v3, v2, 16, 1
	v_cmp_o_f32_e32 vcc_lo, v2, v2
	v_add3_u32 v2, v2, v3, 0x7fff
	v_mov_b32_e32 v3, 0x7fc0
	v_cndmask_b32_sdwa v2, v3, v2, vcc_lo dst_sel:DWORD dst_unused:UNUSED_PAD src0_sel:DWORD src1_sel:WORD_1
	global_store_short v[4:5], v2, off
.LBB8_770:
	s_mov_b32 s8, 0
.LBB8_771:
	s_and_b32 vcc_lo, exec_lo, s8
	s_cbranch_vccz .LBB8_774
; %bb.772:
	s_cmp_eq_u32 s6, 11
	s_mov_b32 s4, -1
	s_cbranch_scc0 .LBB8_774
; %bb.773:
	v_cmp_neq_f64_e32 vcc_lo, 0, v[0:1]
	s_mov_b32 s7, -1
	s_mov_b32 s4, 0
	v_cndmask_b32_e64 v2, 0, 1, vcc_lo
	global_store_byte v[4:5], v2, off
.LBB8_774:
	s_mov_b32 s6, 0
.LBB8_775:
	s_and_b32 vcc_lo, exec_lo, s6
	s_cbranch_vccz .LBB8_814
; %bb.776:
	s_and_b32 s5, 0xffff, s5
	s_mov_b32 s6, -1
	s_cmp_lt_i32 s5, 5
	s_cbranch_scc1 .LBB8_797
; %bb.777:
	s_cmp_lt_i32 s5, 8
	s_cbranch_scc1 .LBB8_787
; %bb.778:
	;; [unrolled: 3-line block ×3, first 2 shown]
	s_cmp_gt_i32 s5, 9
	s_cbranch_scc0 .LBB8_781
; %bb.780:
	v_mov_b32_e32 v2, 0
	s_mov_b32 s6, 0
	v_mov_b32_e32 v3, v2
	global_store_dwordx4 v[4:5], v[0:3], off
.LBB8_781:
	s_andn2_b32 vcc_lo, exec_lo, s6
	s_cbranch_vccnz .LBB8_783
; %bb.782:
	v_cvt_f32_f64_e32 v2, v[0:1]
	v_mov_b32_e32 v3, 0
	global_store_dwordx2 v[4:5], v[2:3], off
.LBB8_783:
	s_mov_b32 s6, 0
.LBB8_784:
	s_andn2_b32 vcc_lo, exec_lo, s6
	s_cbranch_vccnz .LBB8_786
; %bb.785:
	v_and_or_b32 v2, 0x1ff, v1, v0
	v_lshrrev_b32_e32 v3, 8, v1
	v_bfe_u32 v6, v1, 20, 11
	v_cmp_ne_u32_e32 vcc_lo, 0, v2
	v_sub_nc_u32_e32 v7, 0x3f1, v6
	v_add_nc_u32_e32 v6, 0xfffffc10, v6
	v_cndmask_b32_e64 v2, 0, 1, vcc_lo
	v_and_or_b32 v2, 0xffe, v3, v2
	v_med3_i32 v3, v7, 0, 13
	v_or_b32_e32 v7, 0x1000, v2
	v_lshrrev_b32_e32 v8, v3, v7
	v_lshlrev_b32_e32 v3, v3, v8
	v_cmp_ne_u32_e32 vcc_lo, v3, v7
	v_lshl_or_b32 v7, v6, 12, v2
	v_cndmask_b32_e64 v3, 0, 1, vcc_lo
	v_cmp_gt_i32_e32 vcc_lo, 1, v6
	v_or_b32_e32 v3, v8, v3
	v_cndmask_b32_e32 v3, v7, v3, vcc_lo
	v_and_b32_e32 v7, 7, v3
	v_lshrrev_b32_e32 v3, 2, v3
	v_cmp_lt_i32_e32 vcc_lo, 5, v7
	v_cndmask_b32_e64 v8, 0, 1, vcc_lo
	v_cmp_eq_u32_e32 vcc_lo, 3, v7
	v_cndmask_b32_e64 v7, 0, 1, vcc_lo
	v_cmp_ne_u32_e32 vcc_lo, 0, v2
	v_or_b32_e32 v7, v7, v8
	v_mov_b32_e32 v8, 0x7e00
	v_add_nc_u32_e32 v3, v3, v7
	v_cndmask_b32_e32 v2, 0x7c00, v8, vcc_lo
	v_cmp_gt_i32_e32 vcc_lo, 31, v6
	v_cndmask_b32_e32 v3, 0x7c00, v3, vcc_lo
	v_cmp_eq_u32_e32 vcc_lo, 0x40f, v6
	v_cndmask_b32_e32 v2, v3, v2, vcc_lo
	v_lshrrev_b32_e32 v3, 16, v1
	v_and_or_b32 v2, 0x8000, v3, v2
	v_and_b32_e32 v2, 0xffff, v2
	global_store_dword v[4:5], v2, off
.LBB8_786:
	s_mov_b32 s6, 0
.LBB8_787:
	s_andn2_b32 vcc_lo, exec_lo, s6
	s_cbranch_vccnz .LBB8_796
; %bb.788:
	s_cmp_lt_i32 s5, 6
	s_mov_b32 s6, -1
	s_cbranch_scc1 .LBB8_794
; %bb.789:
	s_cmp_gt_i32 s5, 6
	s_cbranch_scc0 .LBB8_791
; %bb.790:
	s_mov_b32 s6, 0
	global_store_dwordx2 v[4:5], v[0:1], off
.LBB8_791:
	s_andn2_b32 vcc_lo, exec_lo, s6
	s_cbranch_vccnz .LBB8_793
; %bb.792:
	v_cvt_f32_f64_e32 v2, v[0:1]
	global_store_dword v[4:5], v2, off
.LBB8_793:
	s_mov_b32 s6, 0
.LBB8_794:
	s_andn2_b32 vcc_lo, exec_lo, s6
	s_cbranch_vccnz .LBB8_796
; %bb.795:
	v_and_or_b32 v2, 0x1ff, v1, v0
	v_lshrrev_b32_e32 v3, 8, v1
	v_bfe_u32 v6, v1, 20, 11
	v_cmp_ne_u32_e32 vcc_lo, 0, v2
	v_sub_nc_u32_e32 v7, 0x3f1, v6
	v_add_nc_u32_e32 v6, 0xfffffc10, v6
	v_cndmask_b32_e64 v2, 0, 1, vcc_lo
	v_and_or_b32 v2, 0xffe, v3, v2
	v_med3_i32 v3, v7, 0, 13
	v_or_b32_e32 v7, 0x1000, v2
	v_lshrrev_b32_e32 v8, v3, v7
	v_lshlrev_b32_e32 v3, v3, v8
	v_cmp_ne_u32_e32 vcc_lo, v3, v7
	v_lshl_or_b32 v7, v6, 12, v2
	v_cndmask_b32_e64 v3, 0, 1, vcc_lo
	v_cmp_gt_i32_e32 vcc_lo, 1, v6
	v_or_b32_e32 v3, v8, v3
	v_cndmask_b32_e32 v3, v7, v3, vcc_lo
	v_and_b32_e32 v7, 7, v3
	v_lshrrev_b32_e32 v3, 2, v3
	v_cmp_lt_i32_e32 vcc_lo, 5, v7
	v_cndmask_b32_e64 v8, 0, 1, vcc_lo
	v_cmp_eq_u32_e32 vcc_lo, 3, v7
	v_cndmask_b32_e64 v7, 0, 1, vcc_lo
	v_cmp_ne_u32_e32 vcc_lo, 0, v2
	v_or_b32_e32 v7, v7, v8
	v_mov_b32_e32 v8, 0x7e00
	v_add_nc_u32_e32 v3, v3, v7
	v_cndmask_b32_e32 v2, 0x7c00, v8, vcc_lo
	v_cmp_gt_i32_e32 vcc_lo, 31, v6
	v_cndmask_b32_e32 v3, 0x7c00, v3, vcc_lo
	v_cmp_eq_u32_e32 vcc_lo, 0x40f, v6
	v_cndmask_b32_e32 v2, v3, v2, vcc_lo
	v_lshrrev_b32_e32 v3, 16, v1
	v_and_or_b32 v2, 0x8000, v3, v2
	global_store_short v[4:5], v2, off
.LBB8_796:
	s_mov_b32 s6, 0
.LBB8_797:
	s_andn2_b32 vcc_lo, exec_lo, s6
	s_cbranch_vccnz .LBB8_813
; %bb.798:
	s_cmp_lt_i32 s5, 2
	s_mov_b32 s6, -1
	s_cbranch_scc1 .LBB8_808
; %bb.799:
	s_cmp_lt_i32 s5, 3
	s_cbranch_scc1 .LBB8_805
; %bb.800:
	s_cmp_gt_i32 s5, 3
	s_cbranch_scc0 .LBB8_802
; %bb.801:
	v_trunc_f64_e32 v[2:3], v[0:1]
	s_mov_b32 s6, 0
	v_ldexp_f64 v[6:7], v[2:3], 0xffffffe0
	v_floor_f64_e32 v[6:7], v[6:7]
	v_fma_f64 v[2:3], 0xc1f00000, v[6:7], v[2:3]
	v_cvt_i32_f64_e32 v7, v[6:7]
	v_cvt_u32_f64_e32 v6, v[2:3]
	global_store_dwordx2 v[4:5], v[6:7], off
.LBB8_802:
	s_andn2_b32 vcc_lo, exec_lo, s6
	s_cbranch_vccnz .LBB8_804
; %bb.803:
	v_cvt_i32_f64_e32 v2, v[0:1]
	global_store_dword v[4:5], v2, off
.LBB8_804:
	s_mov_b32 s6, 0
.LBB8_805:
	s_andn2_b32 vcc_lo, exec_lo, s6
	s_cbranch_vccnz .LBB8_807
; %bb.806:
	v_cvt_i32_f64_e32 v2, v[0:1]
	global_store_short v[4:5], v2, off
.LBB8_807:
	s_mov_b32 s6, 0
.LBB8_808:
	s_andn2_b32 vcc_lo, exec_lo, s6
	s_cbranch_vccnz .LBB8_813
; %bb.809:
	s_cmp_gt_i32 s5, 0
	s_mov_b32 s5, -1
	s_cbranch_scc0 .LBB8_811
; %bb.810:
	v_cvt_i32_f64_e32 v2, v[0:1]
	s_mov_b32 s5, 0
	global_store_byte v[4:5], v2, off
.LBB8_811:
	s_andn2_b32 vcc_lo, exec_lo, s5
	s_cbranch_vccnz .LBB8_813
; %bb.812:
	v_trunc_f64_e32 v[0:1], v[0:1]
	v_ldexp_f64 v[2:3], v[0:1], 0xffffffe0
	v_floor_f64_e32 v[2:3], v[2:3]
	v_fma_f64 v[0:1], 0xc1f00000, v[2:3], v[0:1]
	v_cvt_u32_f64_e32 v0, v[0:1]
	global_store_byte v[4:5], v0, off
.LBB8_813:
	s_mov_b32 s7, -1
.LBB8_814:
	s_andn2_b32 vcc_lo, exec_lo, s7
	s_cbranch_vccnz .LBB8_816
; %bb.815:
	v_add_nc_u32_e32 v42, 0x80, v42
	s_mov_b32 s5, -1
	s_branch .LBB8_818
.LBB8_816:
	s_mov_b32 s5, 0
.LBB8_817:
                                        ; implicit-def: $vgpr42
.LBB8_818:
	s_andn2_b32 s6, s64, exec_lo
	s_and_b32 s4, s4, exec_lo
	s_andn2_b32 s7, s63, exec_lo
	s_and_b32 s8, s67, exec_lo
	s_or_b32 s9, s6, s4
	s_or_b32 s8, s7, s8
	s_orn2_b32 s7, s5, exec_lo
.LBB8_819:
	s_or_b32 exec_lo, exec_lo, s66
	s_mov_b32 s4, 0
	s_mov_b32 s5, 0
	;; [unrolled: 1-line block ×3, first 2 shown]
                                        ; implicit-def: $vgpr0_vgpr1
                                        ; implicit-def: $vgpr40
                                        ; implicit-def: $vgpr2_vgpr3
	s_and_saveexec_b32 s10, s7
	s_cbranch_execz .LBB8_919
; %bb.820:
	s_mov_b32 s12, s8
	s_mov_b32 s7, 0
	;; [unrolled: 1-line block ×3, first 2 shown]
	s_mov_b32 s11, exec_lo
                                        ; implicit-def: $vgpr0_vgpr1
                                        ; implicit-def: $vgpr40
                                        ; implicit-def: $vgpr2_vgpr3
	v_cmpx_gt_i32_e64 s57, v42
	s_cbranch_execz .LBB8_918
; %bb.821:
	s_andn2_b32 vcc_lo, exec_lo, s52
	s_cbranch_vccnz .LBB8_826
; %bb.822:
	s_andn2_b32 vcc_lo, exec_lo, s58
	s_cbranch_vccnz .LBB8_827
; %bb.823:
	s_add_i32 s59, s59, 1
	s_cmp_eq_u32 s50, 2
	s_cbranch_scc1 .LBB8_828
; %bb.824:
	s_waitcnt vmcnt(0)
	v_mov_b32_e32 v0, 0
	v_mov_b32_e32 v40, 0
	;; [unrolled: 1-line block ×3, first 2 shown]
	s_and_b32 s6, s59, 28
	s_mov_b64 s[4:5], s[28:29]
.LBB8_825:                              ; =>This Inner Loop Header: Depth=1
	s_clause 0x1
	s_load_dwordx8 s[12:19], s[4:5], 0x4
	s_load_dwordx4 s[20:23], s[4:5], 0x24
	s_load_dwordx8 s[68:75], s[48:49], 0x0
	s_add_u32 s4, s4, 48
	s_addc_u32 s5, s5, 0
	s_add_i32 s7, s7, 4
	s_add_u32 s48, s48, 32
	s_addc_u32 s49, s49, 0
	s_cmp_eq_u32 s6, s7
	s_waitcnt lgkmcnt(0)
	v_mul_hi_u32 v2, s13, v1
	v_add_nc_u32_e32 v2, v1, v2
	v_lshrrev_b32_e32 v2, s14, v2
	v_mul_hi_u32 v3, s16, v2
	v_mul_lo_u32 v5, v2, s12
	v_add_nc_u32_e32 v3, v2, v3
	v_sub_nc_u32_e32 v1, v1, v5
	v_lshrrev_b32_e32 v3, s17, v3
	v_mul_lo_u32 v5, v1, s68
	v_mul_lo_u32 v7, v1, s69
	v_mul_hi_u32 v4, s19, v3
	v_add_nc_u32_e32 v4, v3, v4
	v_lshrrev_b32_e32 v4, s20, v4
	v_mul_hi_u32 v6, s22, v4
	v_mul_lo_u32 v8, v4, s18
	v_add_nc_u32_e32 v1, v4, v6
	v_mul_lo_u32 v6, v3, s15
	v_sub_nc_u32_e32 v3, v3, v8
	v_lshrrev_b32_e32 v1, s23, v1
	v_mul_lo_u32 v8, v3, s72
	v_mul_lo_u32 v3, v3, s73
	v_sub_nc_u32_e32 v2, v2, v6
	v_mul_lo_u32 v9, v1, s21
	v_mul_lo_u32 v6, v2, s70
	;; [unrolled: 1-line block ×3, first 2 shown]
	v_sub_nc_u32_e32 v4, v4, v9
	v_add3_u32 v5, v5, v40, v6
	v_mul_lo_u32 v9, v4, s74
	v_mul_lo_u32 v4, v4, s75
	v_add3_u32 v0, v7, v0, v2
	v_add3_u32 v40, v8, v5, v9
	;; [unrolled: 1-line block ×3, first 2 shown]
	s_cbranch_scc0 .LBB8_825
	s_branch .LBB8_829
.LBB8_826:
	s_mov_b32 s4, -1
                                        ; implicit-def: $vgpr40
                                        ; implicit-def: $vgpr0
	s_branch .LBB8_833
.LBB8_827:
	v_mov_b32_e32 v40, 0
	s_waitcnt vmcnt(0)
	v_mov_b32_e32 v0, 0
	s_branch .LBB8_832
.LBB8_828:
	v_mov_b32_e32 v40, 0
	s_waitcnt vmcnt(0)
	v_mov_b32_e32 v0, 0
	v_mov_b32_e32 v1, v42
.LBB8_829:
	s_and_b32 s12, s59, 3
	s_cmp_eq_u32 s12, 0
	s_cbranch_scc1 .LBB8_832
; %bb.830:
	s_lshl_b32 s4, s6, 3
	s_mul_i32 s6, s6, 12
	s_add_u32 s4, s28, s4
	s_addc_u32 s5, s29, 0
	s_add_u32 s4, s4, 0xc4
	s_addc_u32 s5, s5, 0
	;; [unrolled: 2-line block ×3, first 2 shown]
.LBB8_831:                              ; =>This Inner Loop Header: Depth=1
	s_clause 0x1
	s_load_dwordx2 s[14:15], s[6:7], 0x4
	s_load_dword s13, s[6:7], 0xc
	s_load_dwordx2 s[16:17], s[4:5], 0x0
	s_add_u32 s6, s6, 12
	s_addc_u32 s7, s7, 0
	s_add_u32 s4, s4, 8
	s_addc_u32 s5, s5, 0
	s_add_i32 s12, s12, -1
	s_cmp_lg_u32 s12, 0
	s_waitcnt lgkmcnt(0)
	v_mul_hi_u32 v2, s15, v1
	v_add_nc_u32_e32 v2, v1, v2
	v_lshrrev_b32_e32 v2, s13, v2
	v_mul_lo_u32 v3, v2, s14
	v_sub_nc_u32_e32 v1, v1, v3
	v_mad_u64_u32 v[40:41], null, v1, s16, v[40:41]
	v_mad_u64_u32 v[0:1], null, v1, s17, v[0:1]
	v_mov_b32_e32 v1, v2
	s_cbranch_scc1 .LBB8_831
.LBB8_832:
	s_mov_b32 s4, 0
.LBB8_833:
	s_andn2_b32 vcc_lo, exec_lo, s4
	s_cbranch_vccnz .LBB8_836
; %bb.834:
	s_waitcnt vmcnt(0) lgkmcnt(0)
	v_mul_hi_u32 v0, s45, v42
	s_andn2_b32 vcc_lo, exec_lo, s56
	v_add_nc_u32_e32 v0, v42, v0
	v_lshrrev_b32_e32 v1, s46, v0
	v_mul_lo_u32 v0, v1, s44
	v_sub_nc_u32_e32 v0, v42, v0
	v_mul_lo_u32 v40, v0, s40
	v_mul_lo_u32 v0, v0, s41
	s_cbranch_vccnz .LBB8_836
; %bb.835:
	v_mul_hi_u32 v2, s34, v1
	v_add_nc_u32_e32 v2, v1, v2
	v_lshrrev_b32_e32 v2, s35, v2
	v_mul_lo_u32 v2, v2, s47
	v_sub_nc_u32_e32 v1, v1, v2
	v_mad_u64_u32 v[40:41], null, v1, s42, v[40:41]
	v_mad_u64_u32 v[0:1], null, v1, s43, v[0:1]
.LBB8_836:
	s_waitcnt vmcnt(0) lgkmcnt(0)
	v_add_co_u32 v0, s4, s38, v0
	v_add_co_ci_u32_e64 v1, null, s39, 0, s4
	s_and_b32 s4, 0xffff, s55
	s_cmp_lt_i32 s4, 11
	s_cbranch_scc1 .LBB8_843
; %bb.837:
	s_cmp_gt_i32 s4, 25
	s_mov_b32 s6, 0
	s_cbranch_scc0 .LBB8_844
; %bb.838:
	s_cmp_gt_i32 s4, 28
	s_cbranch_scc0 .LBB8_845
; %bb.839:
	s_cmp_gt_i32 s4, 43
	s_cbranch_scc0 .LBB8_846
; %bb.840:
	s_cmp_gt_i32 s4, 45
	s_cbranch_scc0 .LBB8_849
; %bb.841:
	s_cmp_eq_u32 s4, 46
	s_mov_b32 s12, 0
	s_cbranch_scc0 .LBB8_852
; %bb.842:
	global_load_dword v2, v[0:1], off
	s_mov_b32 s5, 0
	s_mov_b32 s7, -1
	s_waitcnt vmcnt(0)
	v_lshlrev_b32_e32 v2, 16, v2
	v_cvt_f64_f32_e32 v[2:3], v2
	s_branch .LBB8_854
.LBB8_843:
	s_mov_b32 s4, -1
	s_mov_b32 s7, 0
	s_mov_b32 s6, 0
	s_mov_b32 s5, s8
                                        ; implicit-def: $vgpr2_vgpr3
	s_branch .LBB8_917
.LBB8_844:
	s_mov_b32 s12, -1
	s_mov_b32 s7, 0
	s_mov_b32 s5, s8
                                        ; implicit-def: $vgpr2_vgpr3
	s_branch .LBB8_885
.LBB8_845:
	s_mov_b32 s12, -1
	s_mov_b32 s7, 0
	s_mov_b32 s5, s8
                                        ; implicit-def: $vgpr2_vgpr3
	s_branch .LBB8_864
.LBB8_846:
	s_mov_b32 s12, -1
	s_mov_b32 s7, 0
	s_mov_b32 s5, s8
                                        ; implicit-def: $vgpr2_vgpr3
	s_branch .LBB8_859
.LBB8_847:
	s_andn2_saveexec_b32 s9, s9
	s_cbranch_execz .LBB8_727
.LBB8_848:
	v_add_f32_e64 v3, 0x46000000, |v2|
	s_andn2_b32 s8, s8, exec_lo
	v_and_b32_e32 v3, 0xff, v3
	v_cmp_ne_u32_e32 vcc_lo, 0, v3
	s_and_b32 s10, vcc_lo, exec_lo
	s_or_b32 s8, s8, s10
	s_or_b32 exec_lo, exec_lo, s9
	v_mov_b32_e32 v6, 0
	s_and_saveexec_b32 s9, s8
	s_cbranch_execnz .LBB8_728
	s_branch .LBB8_729
.LBB8_849:
	s_mov_b32 s12, -1
	s_mov_b32 s7, 0
	s_mov_b32 s5, s8
	s_branch .LBB8_853
.LBB8_850:
	s_andn2_saveexec_b32 s9, s9
	s_cbranch_execz .LBB8_740
.LBB8_851:
	v_add_f32_e64 v3, 0x42800000, |v2|
	s_andn2_b32 s8, s8, exec_lo
	v_and_b32_e32 v3, 0xff, v3
	v_cmp_ne_u32_e32 vcc_lo, 0, v3
	s_and_b32 s10, vcc_lo, exec_lo
	s_or_b32 s8, s8, s10
	s_or_b32 exec_lo, exec_lo, s9
	v_mov_b32_e32 v6, 0
	s_and_saveexec_b32 s9, s8
	s_cbranch_execnz .LBB8_741
	s_branch .LBB8_742
.LBB8_852:
	s_mov_b32 s5, -1
	s_mov_b32 s7, 0
.LBB8_853:
                                        ; implicit-def: $vgpr2_vgpr3
.LBB8_854:
	s_and_b32 vcc_lo, exec_lo, s12
	s_cbranch_vccz .LBB8_858
; %bb.855:
	s_cmp_eq_u32 s4, 44
	s_cbranch_scc0 .LBB8_857
; %bb.856:
	global_load_ubyte v4, v[0:1], off
	s_mov_b32 s5, 0
	s_mov_b32 s7, -1
	s_waitcnt vmcnt(0)
	v_lshlrev_b32_e32 v2, 23, v4
	v_cmp_ne_u32_e32 vcc_lo, 0xff, v4
	v_cvt_f64_f32_e32 v[2:3], v2
	v_cndmask_b32_e32 v2, 0x20000000, v2, vcc_lo
	v_cndmask_b32_e32 v3, 0x7ff80000, v3, vcc_lo
	v_cmp_ne_u32_e32 vcc_lo, 0, v4
	v_cndmask_b32_e32 v3, 0x38000000, v3, vcc_lo
	v_cndmask_b32_e32 v2, 0, v2, vcc_lo
	s_branch .LBB8_858
.LBB8_857:
	s_mov_b32 s5, -1
                                        ; implicit-def: $vgpr2_vgpr3
.LBB8_858:
	s_mov_b32 s12, 0
.LBB8_859:
	s_and_b32 vcc_lo, exec_lo, s12
	s_cbranch_vccz .LBB8_863
; %bb.860:
	s_cmp_eq_u32 s4, 29
	s_cbranch_scc0 .LBB8_862
; %bb.861:
	global_load_dwordx2 v[2:3], v[0:1], off
	s_mov_b32 s5, 0
	s_mov_b32 s7, -1
	s_mov_b32 s12, 0
	s_waitcnt vmcnt(0)
	v_cvt_f64_u32_e32 v[3:4], v3
	v_cvt_f64_u32_e32 v[5:6], v2
	v_ldexp_f64 v[3:4], v[3:4], 32
	v_add_f64 v[2:3], v[3:4], v[5:6]
	s_branch .LBB8_864
.LBB8_862:
	s_mov_b32 s5, -1
                                        ; implicit-def: $vgpr2_vgpr3
.LBB8_863:
	s_mov_b32 s12, 0
.LBB8_864:
	s_and_b32 vcc_lo, exec_lo, s12
	s_cbranch_vccz .LBB8_884
; %bb.865:
	s_cmp_lt_i32 s4, 27
	s_cbranch_scc1 .LBB8_868
; %bb.866:
	s_cmp_gt_i32 s4, 27
	s_cbranch_scc0 .LBB8_869
; %bb.867:
	global_load_dword v2, v[0:1], off
	s_mov_b32 s7, 0
	s_waitcnt vmcnt(0)
	v_cvt_f64_u32_e32 v[2:3], v2
	s_branch .LBB8_870
.LBB8_868:
	s_mov_b32 s7, -1
                                        ; implicit-def: $vgpr2_vgpr3
	s_branch .LBB8_873
.LBB8_869:
	s_mov_b32 s7, -1
                                        ; implicit-def: $vgpr2_vgpr3
.LBB8_870:
	s_andn2_b32 vcc_lo, exec_lo, s7
	s_cbranch_vccnz .LBB8_872
; %bb.871:
	global_load_ushort v2, v[0:1], off
	s_waitcnt vmcnt(0)
	v_cvt_f64_u32_e32 v[2:3], v2
.LBB8_872:
	s_mov_b32 s7, 0
.LBB8_873:
	s_andn2_b32 vcc_lo, exec_lo, s7
	s_cbranch_vccnz .LBB8_883
; %bb.874:
	global_load_ubyte v4, v[0:1], off
	s_mov_b32 s7, 0
	s_mov_b32 s12, exec_lo
	s_waitcnt vmcnt(0)
	v_cmpx_lt_i16_e32 0x7f, v4
	s_xor_b32 s12, exec_lo, s12
	s_cbranch_execz .LBB8_878
; %bb.875:
	s_mov_b32 s7, -1
	s_mov_b32 s13, exec_lo
	v_cmpx_eq_u16_e32 0x80, v4
; %bb.876:
	s_xor_b32 s7, exec_lo, -1
; %bb.877:
	s_or_b32 exec_lo, exec_lo, s13
	s_and_b32 s7, s7, exec_lo
.LBB8_878:
	s_or_saveexec_b32 s12, s12
	v_bfrev_b32_e32 v2, 4
	v_mov_b32_e32 v3, 0x7ff80000
	s_xor_b32 exec_lo, exec_lo, s12
; %bb.879:
	v_cmp_ne_u16_e32 vcc_lo, 0, v4
	v_mov_b32_e32 v2, 0
	v_mov_b32_e32 v3, 0
	s_andn2_b32 s7, s7, exec_lo
	s_and_b32 s13, vcc_lo, exec_lo
	s_or_b32 s7, s7, s13
; %bb.880:
	s_or_b32 exec_lo, exec_lo, s12
	s_and_saveexec_b32 s12, s7
	s_cbranch_execz .LBB8_882
; %bb.881:
	v_and_b32_e32 v2, 0xffff, v4
	v_lshlrev_b32_e32 v4, 24, v4
	v_and_b32_e32 v3, 7, v2
	v_bfe_u32 v7, v2, 3, 4
	v_ffbh_u32_e32 v5, v3
	v_cmp_eq_u32_e32 vcc_lo, 0, v7
	v_min_u32_e32 v5, 32, v5
	v_subrev_nc_u32_e32 v6, 28, v5
	v_sub_nc_u32_e32 v5, 29, v5
	v_lshlrev_b32_e32 v2, v6, v2
	v_cndmask_b32_e32 v5, v7, v5, vcc_lo
	v_and_b32_e32 v2, 7, v2
	v_cndmask_b32_e32 v2, v3, v2, vcc_lo
	v_and_b32_e32 v3, 0x80000000, v4
	v_lshl_add_u32 v4, v5, 23, 0x3b800000
	v_lshlrev_b32_e32 v2, 20, v2
	v_or3_b32 v2, v3, v4, v2
	v_cvt_f64_f32_e32 v[2:3], v2
.LBB8_882:
	s_or_b32 exec_lo, exec_lo, s12
.LBB8_883:
	s_mov_b32 s7, -1
.LBB8_884:
	s_mov_b32 s12, 0
.LBB8_885:
	s_and_b32 vcc_lo, exec_lo, s12
	s_cbranch_vccz .LBB8_916
; %bb.886:
	s_cmp_gt_i32 s4, 22
	s_cbranch_scc0 .LBB8_898
; %bb.887:
	s_cmp_lt_i32 s4, 24
	s_cbranch_scc1 .LBB8_899
; %bb.888:
	s_cmp_gt_i32 s4, 24
	s_cbranch_scc0 .LBB8_900
; %bb.889:
	global_load_ubyte v4, v[0:1], off
	s_mov_b32 s7, exec_lo
	s_waitcnt vmcnt(0)
	v_cmpx_lt_i16_e32 0x7f, v4
	s_xor_b32 s7, exec_lo, s7
	s_cbranch_execz .LBB8_893
; %bb.890:
	s_mov_b32 s6, -1
	s_mov_b32 s12, exec_lo
	v_cmpx_eq_u16_e32 0x80, v4
; %bb.891:
	s_xor_b32 s6, exec_lo, -1
; %bb.892:
	s_or_b32 exec_lo, exec_lo, s12
	s_and_b32 s6, s6, exec_lo
.LBB8_893:
	s_or_saveexec_b32 s7, s7
	v_bfrev_b32_e32 v2, 4
	v_mov_b32_e32 v3, 0x7ff80000
	s_xor_b32 exec_lo, exec_lo, s7
; %bb.894:
	v_cmp_ne_u16_e32 vcc_lo, 0, v4
	v_mov_b32_e32 v2, 0
	v_mov_b32_e32 v3, 0
	s_andn2_b32 s6, s6, exec_lo
	s_and_b32 s12, vcc_lo, exec_lo
	s_or_b32 s6, s6, s12
; %bb.895:
	s_or_b32 exec_lo, exec_lo, s7
	s_and_saveexec_b32 s7, s6
	s_cbranch_execz .LBB8_897
; %bb.896:
	v_and_b32_e32 v2, 0xffff, v4
	v_lshlrev_b32_e32 v4, 24, v4
	v_and_b32_e32 v3, 3, v2
	v_bfe_u32 v7, v2, 2, 5
	v_ffbh_u32_e32 v5, v3
	v_cmp_eq_u32_e32 vcc_lo, 0, v7
	v_min_u32_e32 v5, 32, v5
	v_subrev_nc_u32_e32 v6, 29, v5
	v_sub_nc_u32_e32 v5, 30, v5
	v_lshlrev_b32_e32 v2, v6, v2
	v_cndmask_b32_e32 v5, v7, v5, vcc_lo
	v_and_b32_e32 v2, 3, v2
	v_cndmask_b32_e32 v2, v3, v2, vcc_lo
	v_and_b32_e32 v3, 0x80000000, v4
	v_lshl_add_u32 v4, v5, 23, 0x37800000
	v_lshlrev_b32_e32 v2, 21, v2
	v_or3_b32 v2, v3, v4, v2
	v_cvt_f64_f32_e32 v[2:3], v2
.LBB8_897:
	s_or_b32 exec_lo, exec_lo, s7
	s_mov_b32 s6, 0
	s_branch .LBB8_901
.LBB8_898:
	s_mov_b32 s6, -1
                                        ; implicit-def: $vgpr2_vgpr3
	s_branch .LBB8_907
.LBB8_899:
	s_mov_b32 s6, -1
                                        ; implicit-def: $vgpr2_vgpr3
	s_branch .LBB8_904
.LBB8_900:
	s_mov_b32 s6, -1
                                        ; implicit-def: $vgpr2_vgpr3
.LBB8_901:
	s_and_b32 vcc_lo, exec_lo, s6
	s_cbranch_vccz .LBB8_903
; %bb.902:
	global_load_ubyte v2, v[0:1], off
	s_waitcnt vmcnt(0)
	v_lshlrev_b32_e32 v2, 24, v2
	v_and_b32_e32 v3, 0x7f000000, v2
	v_ffbh_u32_e32 v4, v3
	v_add_nc_u32_e32 v6, 0x1000000, v3
	v_cmp_ne_u32_e32 vcc_lo, 0, v3
	v_min_u32_e32 v4, 32, v4
	v_sub_nc_u32_e64 v4, v4, 4 clamp
	v_lshlrev_b32_e32 v5, v4, v3
	v_lshlrev_b32_e32 v4, 23, v4
	v_lshrrev_b32_e32 v5, 4, v5
	v_sub_nc_u32_e32 v4, v5, v4
	v_ashrrev_i32_e32 v5, 8, v6
	v_add_nc_u32_e32 v4, 0x3c000000, v4
	v_and_or_b32 v4, 0x7f800000, v5, v4
	v_cndmask_b32_e32 v3, 0, v4, vcc_lo
	v_and_or_b32 v2, 0x80000000, v2, v3
	v_cvt_f64_f32_e32 v[2:3], v2
.LBB8_903:
	s_mov_b32 s6, 0
.LBB8_904:
	s_andn2_b32 vcc_lo, exec_lo, s6
	s_cbranch_vccnz .LBB8_906
; %bb.905:
	global_load_ubyte v2, v[0:1], off
	s_waitcnt vmcnt(0)
	v_lshlrev_b32_e32 v3, 25, v2
	v_lshlrev_b16 v2, 8, v2
	v_lshrrev_b32_e32 v4, 4, v3
	v_and_or_b32 v5, 0x7f00, v2, 0.5
	v_cmp_gt_u32_e32 vcc_lo, 0x8000000, v3
	v_bfe_i32 v2, v2, 0, 16
	v_or_b32_e32 v4, 0x70000000, v4
	v_add_f32_e32 v5, -0.5, v5
	v_mul_f32_e32 v4, 0x7800000, v4
	v_cndmask_b32_e32 v3, v4, v5, vcc_lo
	v_and_or_b32 v2, 0x80000000, v2, v3
	v_cvt_f64_f32_e32 v[2:3], v2
.LBB8_906:
	s_mov_b32 s6, 0
	s_mov_b32 s7, -1
.LBB8_907:
	s_andn2_b32 vcc_lo, exec_lo, s6
	s_mov_b32 s6, 0
	s_cbranch_vccnz .LBB8_916
; %bb.908:
	s_cmp_gt_i32 s4, 14
	s_cbranch_scc0 .LBB8_911
; %bb.909:
	s_cmp_eq_u32 s4, 15
	s_cbranch_scc0 .LBB8_912
; %bb.910:
	global_load_ushort v2, v[0:1], off
	s_mov_b32 s5, 0
	s_mov_b32 s7, -1
	s_waitcnt vmcnt(0)
	v_lshlrev_b32_e32 v2, 16, v2
	v_cvt_f64_f32_e32 v[2:3], v2
	s_branch .LBB8_914
.LBB8_911:
	s_mov_b32 s6, -1
	s_branch .LBB8_913
.LBB8_912:
	s_mov_b32 s5, -1
.LBB8_913:
                                        ; implicit-def: $vgpr2_vgpr3
.LBB8_914:
	s_and_b32 vcc_lo, exec_lo, s6
	s_mov_b32 s6, 0
	s_cbranch_vccz .LBB8_916
; %bb.915:
	s_cmp_lg_u32 s4, 11
	s_mov_b32 s6, -1
	s_cselect_b32 s4, -1, 0
	s_andn2_b32 s5, s5, exec_lo
	s_and_b32 s4, s4, exec_lo
	s_or_b32 s5, s5, s4
.LBB8_916:
	s_mov_b32 s4, 0
.LBB8_917:
	s_andn2_b32 s12, s8, exec_lo
	s_and_b32 s5, s5, exec_lo
	s_and_b32 s13, s7, exec_lo
	;; [unrolled: 1-line block ×4, first 2 shown]
	s_or_b32 s12, s12, s5
.LBB8_918:
	s_or_b32 exec_lo, exec_lo, s11
	s_and_b32 s5, s7, exec_lo
	s_andn2_b32 s7, s8, exec_lo
	s_and_b32 s8, s12, exec_lo
	s_and_b32 s6, s13, exec_lo
	;; [unrolled: 1-line block ×3, first 2 shown]
	s_or_b32 s8, s7, s8
.LBB8_919:
	s_or_b32 exec_lo, exec_lo, s10
	s_andn2_b32 s7, s64, exec_lo
	s_and_b32 s9, s9, exec_lo
	s_and_b32 s8, s8, exec_lo
	s_or_b32 s64, s7, s9
	s_andn2_b32 s9, s63, exec_lo
	s_and_b32 s7, s6, exec_lo
	s_and_b32 s6, s5, exec_lo
	;; [unrolled: 1-line block ×3, first 2 shown]
	s_or_b32 s63, s9, s8
.LBB8_920:
	s_or_b32 exec_lo, exec_lo, s65
	s_andn2_b32 s4, s60, exec_lo
	s_and_b32 s8, s64, exec_lo
	s_and_b32 s6, s6, exec_lo
	s_or_b32 s60, s4, s8
	s_and_b32 s4, s7, exec_lo
	s_andn2_b32 s7, s61, exec_lo
	s_and_b32 s8, s63, exec_lo
	s_and_b32 s63, s5, exec_lo
	s_or_b32 s61, s7, s8
	s_or_b32 exec_lo, exec_lo, s62
	s_waitcnt lgkmcnt(0)
	s_mov_b32 s34, 0
	s_and_saveexec_b32 s5, s61
	s_cbranch_execz .LBB8_274
.LBB8_921:
	s_mov_b32 s34, exec_lo
	s_andn2_b32 s63, s63, exec_lo
	s_trap 2
	s_or_b32 exec_lo, exec_lo, s5
	s_and_saveexec_b32 s5, s63
	s_xor_b32 s5, exec_lo, s5
	s_cbranch_execnz .LBB8_275
.LBB8_922:
	s_or_b32 exec_lo, exec_lo, s5
	s_and_saveexec_b32 s5, s6
	s_cbranch_execz .LBB8_968
.LBB8_923:
	s_sext_i32_i16 s6, s55
	s_cmp_lt_i32 s6, 5
	s_cbranch_scc1 .LBB8_928
; %bb.924:
	s_cmp_lt_i32 s6, 8
	s_cbranch_scc1 .LBB8_929
; %bb.925:
	;; [unrolled: 3-line block ×3, first 2 shown]
	s_cmp_gt_i32 s6, 9
	s_cbranch_scc0 .LBB8_931
; %bb.927:
	s_waitcnt vmcnt(0)
	global_load_dwordx2 v[2:3], v[0:1], off
	s_mov_b32 s6, 0
	s_branch .LBB8_932
.LBB8_928:
                                        ; implicit-def: $vgpr2_vgpr3
	s_branch .LBB8_949
.LBB8_929:
                                        ; implicit-def: $vgpr2_vgpr3
	s_branch .LBB8_938
.LBB8_930:
	s_mov_b32 s6, -1
                                        ; implicit-def: $vgpr2_vgpr3
	s_branch .LBB8_935
.LBB8_931:
	s_mov_b32 s6, -1
                                        ; implicit-def: $vgpr2_vgpr3
.LBB8_932:
	s_andn2_b32 vcc_lo, exec_lo, s6
	s_cbranch_vccnz .LBB8_934
; %bb.933:
	s_waitcnt vmcnt(0)
	global_load_dword v2, v[0:1], off
	s_waitcnt vmcnt(0)
	v_cvt_f64_f32_e32 v[2:3], v2
.LBB8_934:
	s_mov_b32 s6, 0
.LBB8_935:
	s_andn2_b32 vcc_lo, exec_lo, s6
	s_cbranch_vccnz .LBB8_937
; %bb.936:
	s_waitcnt vmcnt(0)
	global_load_dword v2, v[0:1], off
	s_waitcnt vmcnt(0)
	v_cvt_f32_f16_e32 v2, v2
	v_cvt_f64_f32_e32 v[2:3], v2
.LBB8_937:
	s_cbranch_execnz .LBB8_948
.LBB8_938:
	s_sext_i32_i16 s6, s55
	s_cmp_lt_i32 s6, 6
	s_cbranch_scc1 .LBB8_941
; %bb.939:
	s_cmp_gt_i32 s6, 6
	s_cbranch_scc0 .LBB8_942
; %bb.940:
	s_waitcnt vmcnt(0)
	global_load_dwordx2 v[2:3], v[0:1], off
	s_mov_b32 s6, 0
	s_branch .LBB8_943
.LBB8_941:
	s_mov_b32 s6, -1
                                        ; implicit-def: $vgpr2_vgpr3
	s_branch .LBB8_946
.LBB8_942:
	s_mov_b32 s6, -1
                                        ; implicit-def: $vgpr2_vgpr3
.LBB8_943:
	s_andn2_b32 vcc_lo, exec_lo, s6
	s_cbranch_vccnz .LBB8_945
; %bb.944:
	s_waitcnt vmcnt(0)
	global_load_dword v2, v[0:1], off
	s_waitcnt vmcnt(0)
	v_cvt_f64_f32_e32 v[2:3], v2
.LBB8_945:
	s_mov_b32 s6, 0
.LBB8_946:
	s_andn2_b32 vcc_lo, exec_lo, s6
	s_cbranch_vccnz .LBB8_948
; %bb.947:
	s_waitcnt vmcnt(0)
	global_load_ushort v2, v[0:1], off
	s_waitcnt vmcnt(0)
	v_cvt_f32_f16_e32 v2, v2
	v_cvt_f64_f32_e32 v[2:3], v2
.LBB8_948:
	s_cbranch_execnz .LBB8_967
.LBB8_949:
	s_sext_i32_i16 s6, s55
	s_cmp_lt_i32 s6, 2
	s_cbranch_scc1 .LBB8_953
; %bb.950:
	s_cmp_lt_i32 s6, 3
	s_cbranch_scc1 .LBB8_954
; %bb.951:
	s_cmp_gt_i32 s6, 3
	s_cbranch_scc0 .LBB8_955
; %bb.952:
	s_waitcnt vmcnt(0)
	global_load_dwordx2 v[2:3], v[0:1], off
	s_mov_b32 s6, 0
	s_waitcnt vmcnt(0)
	v_cvt_f64_i32_e32 v[3:4], v3
	v_cvt_f64_u32_e32 v[5:6], v2
	v_ldexp_f64 v[3:4], v[3:4], 32
	v_add_f64 v[2:3], v[3:4], v[5:6]
	s_branch .LBB8_956
.LBB8_953:
                                        ; implicit-def: $vgpr2_vgpr3
	s_branch .LBB8_962
.LBB8_954:
	s_mov_b32 s6, -1
                                        ; implicit-def: $vgpr2_vgpr3
	s_branch .LBB8_959
.LBB8_955:
	s_mov_b32 s6, -1
                                        ; implicit-def: $vgpr2_vgpr3
.LBB8_956:
	s_andn2_b32 vcc_lo, exec_lo, s6
	s_cbranch_vccnz .LBB8_958
; %bb.957:
	s_waitcnt vmcnt(0)
	global_load_dword v2, v[0:1], off
	s_waitcnt vmcnt(0)
	v_cvt_f64_i32_e32 v[2:3], v2
.LBB8_958:
	s_mov_b32 s6, 0
.LBB8_959:
	s_andn2_b32 vcc_lo, exec_lo, s6
	s_cbranch_vccnz .LBB8_961
; %bb.960:
	s_waitcnt vmcnt(0)
	global_load_sshort v2, v[0:1], off
	s_waitcnt vmcnt(0)
	v_cvt_f64_i32_e32 v[2:3], v2
.LBB8_961:
	s_cbranch_execnz .LBB8_967
.LBB8_962:
	s_sext_i32_i16 s6, s55
	s_cmp_gt_i32 s6, 0
	s_mov_b32 s6, 0
	s_cbranch_scc0 .LBB8_964
; %bb.963:
	s_waitcnt vmcnt(0)
	global_load_sbyte v2, v[0:1], off
	s_waitcnt vmcnt(0)
	v_cvt_f64_i32_e32 v[2:3], v2
	s_branch .LBB8_965
.LBB8_964:
	s_mov_b32 s6, -1
                                        ; implicit-def: $vgpr2_vgpr3
.LBB8_965:
	s_andn2_b32 vcc_lo, exec_lo, s6
	s_cbranch_vccnz .LBB8_967
; %bb.966:
	s_waitcnt vmcnt(0)
	global_load_ubyte v0, v[0:1], off
	s_waitcnt vmcnt(0)
	v_cvt_f64_u32_e32 v[2:3], v0
.LBB8_967:
	s_or_b32 s4, s4, exec_lo
.LBB8_968:
	s_or_b32 exec_lo, exec_lo, s5
	s_mov_b32 s7, 0
	s_mov_b32 s6, 0
                                        ; implicit-def: $sgpr5
                                        ; implicit-def: $vgpr4_vgpr5
                                        ; implicit-def: $vgpr0_vgpr1
	s_and_saveexec_b32 s35, s4
	s_cbranch_execz .LBB8_976
; %bb.969:
	s_waitcnt vmcnt(0)
	v_mov_b32_e32 v0, v2
	v_mov_b32_e32 v1, v3
	s_getpc_b64 s[4:5]
	s_add_u32 s4, s4, _ZZZZN2at6native12_GLOBAL__N_121bessel_j1_kernel_cudaERNS_18TensorIteratorBaseEENKUlvE_clEvENKUlvE_clEvENKUldE_clEd@rel32@lo+4
	s_addc_u32 s5, s5, _ZZZZN2at6native12_GLOBAL__N_121bessel_j1_kernel_cudaERNS_18TensorIteratorBaseEENKUlvE_clEvENKUlvE_clEvENKUldE_clEd@rel32@hi+12
	s_swappc_b64 s[30:31], s[4:5]
	v_add_co_u32 v4, s4, s36, v40
	v_add_co_ci_u32_e64 v5, null, s37, 0, s4
	s_and_b32 s5, s54, 0xff
	s_cmp_lt_i32 s5, 11
	s_cbranch_scc1 .LBB8_979
; %bb.970:
	s_and_b32 s6, 0xffff, s5
	s_mov_b32 s7, -1
	s_cmp_gt_i32 s6, 25
	s_mov_b32 s4, s60
	s_cbranch_scc0 .LBB8_1007
; %bb.971:
	s_cmp_gt_i32 s6, 28
	s_mov_b32 s4, s60
	s_cbranch_scc0 .LBB8_991
; %bb.972:
	;; [unrolled: 4-line block ×4, first 2 shown]
	s_cmp_eq_u32 s6, 46
	s_mov_b32 s4, -1
	s_cbranch_scc0 .LBB8_980
; %bb.975:
	v_cvt_f32_f64_e32 v2, v[0:1]
	s_mov_b32 s4, 0
	s_mov_b32 s7, 0
	v_bfe_u32 v3, v2, 16, 1
	v_cmp_o_f32_e32 vcc_lo, v2, v2
	v_add3_u32 v2, v2, v3, 0x7fff
	v_mov_b32_e32 v3, 0x7fc0
	v_cndmask_b32_sdwa v2, v3, v2, vcc_lo dst_sel:DWORD dst_unused:UNUSED_PAD src0_sel:DWORD src1_sel:WORD_1
	global_store_dword v[4:5], v2, off
	s_branch .LBB8_981
.LBB8_976:
	s_or_b32 exec_lo, exec_lo, s35
	s_and_saveexec_b32 s4, s60
	s_cbranch_execnz .LBB8_1049
.LBB8_977:
	s_or_b32 exec_lo, exec_lo, s4
	s_and_saveexec_b32 s4, s7
	s_xor_b32 s4, exec_lo, s4
	s_cbranch_execz .LBB8_1050
.LBB8_978:
	s_waitcnt vmcnt(0)
	v_cmp_neq_f64_e32 vcc_lo, 0, v[0:1]
	v_cndmask_b32_e64 v2, 0, 1, vcc_lo
	global_store_byte v[4:5], v2, off
	s_or_b32 exec_lo, exec_lo, s4
	s_and_saveexec_b32 s4, s6
	s_xor_b32 s4, exec_lo, s4
	s_cbranch_execz .LBB8_1088
	s_branch .LBB8_1051
.LBB8_979:
	s_mov_b32 s8, 0
	s_mov_b32 s7, -1
	s_mov_b32 s4, s60
	s_branch .LBB8_1048
.LBB8_980:
	s_mov_b32 s7, 0
.LBB8_981:
	s_and_b32 vcc_lo, exec_lo, s7
	s_cbranch_vccz .LBB8_986
; %bb.982:
	s_cmp_eq_u32 s6, 44
	s_mov_b32 s4, -1
	s_cbranch_scc0 .LBB8_986
; %bb.983:
	v_cvt_f32_f64_e32 v2, v[0:1]
	v_mov_b32_e32 v3, 0xff
	s_mov_b32 s7, exec_lo
	v_bfe_u32 v6, v2, 23, 8
	v_cmpx_ne_u32_e32 0xff, v6
	s_cbranch_execz .LBB8_985
; %bb.984:
	v_and_b32_e32 v3, 0x400000, v2
	v_and_or_b32 v6, 0x3fffff, v2, v6
	v_lshrrev_b32_e32 v2, 23, v2
	v_cmp_ne_u32_e32 vcc_lo, 0, v3
	v_cmp_ne_u32_e64 s4, 0, v6
	s_and_b32 s4, vcc_lo, s4
	v_cndmask_b32_e64 v3, 0, 1, s4
	v_add_nc_u32_e32 v3, v2, v3
.LBB8_985:
	s_or_b32 exec_lo, exec_lo, s7
	s_mov_b32 s4, 0
	global_store_byte v[4:5], v3, off
.LBB8_986:
	s_mov_b32 s7, 0
.LBB8_987:
	s_and_b32 vcc_lo, exec_lo, s7
	s_cbranch_vccz .LBB8_990
; %bb.988:
	s_cmp_eq_u32 s6, 29
	s_mov_b32 s4, -1
	s_cbranch_scc0 .LBB8_990
; %bb.989:
	v_trunc_f64_e32 v[2:3], v[0:1]
	s_mov_b32 s4, 0
	s_mov_b32 s7, 0
	v_ldexp_f64 v[6:7], v[2:3], 0xffffffe0
	v_floor_f64_e32 v[6:7], v[6:7]
	v_fma_f64 v[2:3], 0xc1f00000, v[6:7], v[2:3]
	v_cvt_u32_f64_e32 v7, v[6:7]
	v_cvt_u32_f64_e32 v6, v[2:3]
	global_store_dwordx2 v[4:5], v[6:7], off
	s_branch .LBB8_991
.LBB8_990:
	s_mov_b32 s7, 0
.LBB8_991:
	s_and_b32 vcc_lo, exec_lo, s7
	s_cbranch_vccz .LBB8_1006
; %bb.992:
	s_cmp_lt_i32 s6, 27
	s_mov_b32 s7, -1
	s_cbranch_scc1 .LBB8_998
; %bb.993:
	s_cmp_gt_i32 s6, 27
	s_cbranch_scc0 .LBB8_995
; %bb.994:
	v_cvt_u32_f64_e32 v2, v[0:1]
	s_mov_b32 s7, 0
	global_store_dword v[4:5], v2, off
.LBB8_995:
	s_andn2_b32 vcc_lo, exec_lo, s7
	s_cbranch_vccnz .LBB8_997
; %bb.996:
	v_cvt_u32_f64_e32 v2, v[0:1]
	global_store_short v[4:5], v2, off
.LBB8_997:
	s_mov_b32 s7, 0
.LBB8_998:
	s_andn2_b32 vcc_lo, exec_lo, s7
	s_cbranch_vccnz .LBB8_1006
; %bb.999:
	v_cvt_f32_f64_e32 v2, v[0:1]
	v_mov_b32_e32 v6, 0x80
	s_mov_b32 s7, exec_lo
	v_and_b32_e32 v3, 0x7fffffff, v2
	v_cmpx_gt_u32_e32 0x43800000, v3
	s_cbranch_execz .LBB8_1005
; %bb.1000:
	v_cmp_lt_u32_e32 vcc_lo, 0x3bffffff, v3
	s_mov_b32 s8, 0
                                        ; implicit-def: $vgpr3
	s_and_saveexec_b32 s9, vcc_lo
	s_xor_b32 s9, exec_lo, s9
	s_cbranch_execz .LBB8_1159
; %bb.1001:
	v_bfe_u32 v3, v2, 20, 1
	s_mov_b32 s8, exec_lo
	v_add3_u32 v3, v2, v3, 0x487ffff
	v_lshrrev_b32_e32 v3, 20, v3
	s_andn2_saveexec_b32 s9, s9
	s_cbranch_execnz .LBB8_1160
.LBB8_1002:
	s_or_b32 exec_lo, exec_lo, s9
	v_mov_b32_e32 v6, 0
	s_and_saveexec_b32 s9, s8
.LBB8_1003:
	v_lshrrev_b32_e32 v2, 24, v2
	v_and_or_b32 v6, 0x80, v2, v3
.LBB8_1004:
	s_or_b32 exec_lo, exec_lo, s9
.LBB8_1005:
	s_or_b32 exec_lo, exec_lo, s7
	global_store_byte v[4:5], v6, off
.LBB8_1006:
	s_mov_b32 s7, 0
.LBB8_1007:
	s_and_b32 vcc_lo, exec_lo, s7
	s_mov_b32 s7, 0
	s_cbranch_vccz .LBB8_1047
; %bb.1008:
	s_cmp_gt_i32 s6, 22
	s_mov_b32 s8, -1
	s_cbranch_scc0 .LBB8_1040
; %bb.1009:
	s_cmp_lt_i32 s6, 24
	s_cbranch_scc1 .LBB8_1029
; %bb.1010:
	s_cmp_gt_i32 s6, 24
	s_cbranch_scc0 .LBB8_1018
; %bb.1011:
	v_cvt_f32_f64_e32 v2, v[0:1]
	v_mov_b32_e32 v6, 0x80
	s_mov_b32 s8, exec_lo
	v_and_b32_e32 v3, 0x7fffffff, v2
	v_cmpx_gt_u32_e32 0x47800000, v3
	s_cbranch_execz .LBB8_1017
; %bb.1012:
	v_cmp_lt_u32_e32 vcc_lo, 0x37ffffff, v3
	s_mov_b32 s9, 0
                                        ; implicit-def: $vgpr3
	s_and_saveexec_b32 s10, vcc_lo
	s_xor_b32 s10, exec_lo, s10
	s_cbranch_execz .LBB8_1285
; %bb.1013:
	v_bfe_u32 v3, v2, 21, 1
	s_mov_b32 s9, exec_lo
	v_add3_u32 v3, v2, v3, 0x88fffff
	v_lshrrev_b32_e32 v3, 21, v3
	s_andn2_saveexec_b32 s10, s10
	s_cbranch_execnz .LBB8_1286
.LBB8_1014:
	s_or_b32 exec_lo, exec_lo, s10
	v_mov_b32_e32 v6, 0
	s_and_saveexec_b32 s10, s9
.LBB8_1015:
	v_lshrrev_b32_e32 v2, 24, v2
	v_and_or_b32 v6, 0x80, v2, v3
.LBB8_1016:
	s_or_b32 exec_lo, exec_lo, s10
.LBB8_1017:
	s_or_b32 exec_lo, exec_lo, s8
	s_mov_b32 s8, 0
	global_store_byte v[4:5], v6, off
.LBB8_1018:
	s_and_b32 vcc_lo, exec_lo, s8
	s_cbranch_vccz .LBB8_1028
; %bb.1019:
	v_cvt_f32_f64_e32 v2, v[0:1]
	s_mov_b32 s8, exec_lo
                                        ; implicit-def: $vgpr3
	v_and_b32_e32 v6, 0x7fffffff, v2
	v_cmpx_gt_u32_e32 0x43f00000, v6
	s_xor_b32 s8, exec_lo, s8
	s_cbranch_execz .LBB8_1025
; %bb.1020:
	s_mov_b32 s9, exec_lo
                                        ; implicit-def: $vgpr3
	v_cmpx_lt_u32_e32 0x3c7fffff, v6
	s_xor_b32 s9, exec_lo, s9
; %bb.1021:
	v_bfe_u32 v3, v2, 20, 1
	v_add3_u32 v3, v2, v3, 0x407ffff
	v_and_b32_e32 v6, 0xff00000, v3
	v_lshrrev_b32_e32 v3, 20, v3
	v_cmp_ne_u32_e32 vcc_lo, 0x7f00000, v6
	v_cndmask_b32_e32 v3, 0x7e, v3, vcc_lo
; %bb.1022:
	s_andn2_saveexec_b32 s9, s9
; %bb.1023:
	v_add_f32_e64 v3, 0x46800000, |v2|
; %bb.1024:
	s_or_b32 exec_lo, exec_lo, s9
                                        ; implicit-def: $vgpr6
.LBB8_1025:
	s_andn2_saveexec_b32 s8, s8
; %bb.1026:
	v_mov_b32_e32 v3, 0x7f
	v_cmp_lt_u32_e32 vcc_lo, 0x7f800000, v6
	v_cndmask_b32_e32 v3, 0x7e, v3, vcc_lo
; %bb.1027:
	s_or_b32 exec_lo, exec_lo, s8
	v_lshrrev_b32_e32 v2, 24, v2
	v_and_or_b32 v2, 0x80, v2, v3
	global_store_byte v[4:5], v2, off
.LBB8_1028:
	s_mov_b32 s8, 0
.LBB8_1029:
	s_andn2_b32 vcc_lo, exec_lo, s8
	s_cbranch_vccnz .LBB8_1039
; %bb.1030:
	v_cvt_f32_f64_e32 v2, v[0:1]
	s_mov_b32 s8, exec_lo
                                        ; implicit-def: $vgpr3
	v_and_b32_e32 v6, 0x7fffffff, v2
	v_cmpx_gt_u32_e32 0x47800000, v6
	s_xor_b32 s8, exec_lo, s8
	s_cbranch_execz .LBB8_1036
; %bb.1031:
	s_mov_b32 s9, exec_lo
                                        ; implicit-def: $vgpr3
	v_cmpx_lt_u32_e32 0x387fffff, v6
	s_xor_b32 s9, exec_lo, s9
; %bb.1032:
	v_bfe_u32 v3, v2, 21, 1
	v_add3_u32 v3, v2, v3, 0x80fffff
	v_lshrrev_b32_e32 v3, 21, v3
; %bb.1033:
	s_andn2_saveexec_b32 s9, s9
; %bb.1034:
	v_add_f32_e64 v3, 0x43000000, |v2|
; %bb.1035:
	s_or_b32 exec_lo, exec_lo, s9
                                        ; implicit-def: $vgpr6
.LBB8_1036:
	s_andn2_saveexec_b32 s8, s8
; %bb.1037:
	v_mov_b32_e32 v3, 0x7f
	v_cmp_lt_u32_e32 vcc_lo, 0x7f800000, v6
	v_cndmask_b32_e32 v3, 0x7c, v3, vcc_lo
; %bb.1038:
	s_or_b32 exec_lo, exec_lo, s8
	v_lshrrev_b32_e32 v2, 24, v2
	v_and_or_b32 v2, 0x80, v2, v3
	global_store_byte v[4:5], v2, off
.LBB8_1039:
	s_mov_b32 s8, 0
.LBB8_1040:
	s_andn2_b32 vcc_lo, exec_lo, s8
	s_mov_b32 s8, 0
	s_cbranch_vccnz .LBB8_1048
; %bb.1041:
	s_cmp_gt_i32 s6, 14
	s_mov_b32 s8, -1
	s_cbranch_scc0 .LBB8_1045
; %bb.1042:
	s_cmp_eq_u32 s6, 15
	s_mov_b32 s4, -1
	s_cbranch_scc0 .LBB8_1044
; %bb.1043:
	v_cvt_f32_f64_e32 v2, v[0:1]
	s_mov_b32 s4, 0
	v_bfe_u32 v3, v2, 16, 1
	v_cmp_o_f32_e32 vcc_lo, v2, v2
	v_add3_u32 v2, v2, v3, 0x7fff
	v_mov_b32_e32 v3, 0x7fc0
	v_cndmask_b32_sdwa v2, v3, v2, vcc_lo dst_sel:DWORD dst_unused:UNUSED_PAD src0_sel:DWORD src1_sel:WORD_1
	global_store_short v[4:5], v2, off
.LBB8_1044:
	s_mov_b32 s8, 0
.LBB8_1045:
	s_and_b32 vcc_lo, exec_lo, s8
	s_mov_b32 s8, 0
	s_cbranch_vccz .LBB8_1048
; %bb.1046:
	s_cmp_lg_u32 s6, 11
	s_mov_b32 s8, -1
	s_cselect_b32 s6, -1, 0
	s_andn2_b32 s4, s4, exec_lo
	s_and_b32 s6, s6, exec_lo
	s_or_b32 s4, s4, s6
	s_branch .LBB8_1048
.LBB8_1047:
	s_mov_b32 s8, 0
.LBB8_1048:
	s_andn2_b32 s9, s60, exec_lo
	s_and_b32 s4, s4, exec_lo
	s_and_b32 s6, s7, exec_lo
	;; [unrolled: 1-line block ×3, first 2 shown]
	s_or_b32 s60, s9, s4
	s_or_b32 exec_lo, exec_lo, s35
	s_and_saveexec_b32 s4, s60
	s_cbranch_execz .LBB8_977
.LBB8_1049:
	s_or_b32 s34, s34, exec_lo
	s_andn2_b32 s7, s7, exec_lo
	s_trap 2
	s_or_b32 exec_lo, exec_lo, s4
	s_and_saveexec_b32 s4, s7
	s_xor_b32 s4, exec_lo, s4
	s_cbranch_execnz .LBB8_978
.LBB8_1050:
	s_or_b32 exec_lo, exec_lo, s4
	s_and_saveexec_b32 s4, s6
	s_xor_b32 s4, exec_lo, s4
	s_cbranch_execz .LBB8_1088
.LBB8_1051:
	s_sext_i32_i16 s7, s5
	s_mov_b32 s6, -1
	s_cmp_lt_i32 s7, 5
	s_cbranch_scc1 .LBB8_1072
; %bb.1052:
	s_cmp_lt_i32 s7, 8
	s_cbranch_scc1 .LBB8_1062
; %bb.1053:
	s_cmp_lt_i32 s7, 9
	s_cbranch_scc1 .LBB8_1059
; %bb.1054:
	s_cmp_gt_i32 s7, 9
	s_cbranch_scc0 .LBB8_1056
; %bb.1055:
	s_waitcnt vmcnt(0)
	v_mov_b32_e32 v2, 0
	s_mov_b32 s6, 0
	v_mov_b32_e32 v3, v2
	global_store_dwordx4 v[4:5], v[0:3], off
.LBB8_1056:
	s_andn2_b32 vcc_lo, exec_lo, s6
	s_cbranch_vccnz .LBB8_1058
; %bb.1057:
	s_waitcnt vmcnt(0)
	v_cvt_f32_f64_e32 v2, v[0:1]
	v_mov_b32_e32 v3, 0
	global_store_dwordx2 v[4:5], v[2:3], off
.LBB8_1058:
	s_mov_b32 s6, 0
.LBB8_1059:
	s_andn2_b32 vcc_lo, exec_lo, s6
	s_cbranch_vccnz .LBB8_1061
; %bb.1060:
	s_waitcnt vmcnt(0)
	v_and_or_b32 v2, 0x1ff, v1, v0
	v_lshrrev_b32_e32 v3, 8, v1
	v_bfe_u32 v6, v1, 20, 11
	v_cmp_ne_u32_e32 vcc_lo, 0, v2
	v_sub_nc_u32_e32 v7, 0x3f1, v6
	v_add_nc_u32_e32 v6, 0xfffffc10, v6
	v_cndmask_b32_e64 v2, 0, 1, vcc_lo
	v_and_or_b32 v2, 0xffe, v3, v2
	v_med3_i32 v3, v7, 0, 13
	v_or_b32_e32 v7, 0x1000, v2
	v_lshrrev_b32_e32 v8, v3, v7
	v_lshlrev_b32_e32 v3, v3, v8
	v_cmp_ne_u32_e32 vcc_lo, v3, v7
	v_lshl_or_b32 v7, v6, 12, v2
	v_cndmask_b32_e64 v3, 0, 1, vcc_lo
	v_cmp_gt_i32_e32 vcc_lo, 1, v6
	v_or_b32_e32 v3, v8, v3
	v_cndmask_b32_e32 v3, v7, v3, vcc_lo
	v_and_b32_e32 v7, 7, v3
	v_lshrrev_b32_e32 v3, 2, v3
	v_cmp_lt_i32_e32 vcc_lo, 5, v7
	v_cndmask_b32_e64 v8, 0, 1, vcc_lo
	v_cmp_eq_u32_e32 vcc_lo, 3, v7
	v_cndmask_b32_e64 v7, 0, 1, vcc_lo
	v_cmp_ne_u32_e32 vcc_lo, 0, v2
	v_or_b32_e32 v7, v7, v8
	v_mov_b32_e32 v8, 0x7e00
	v_add_nc_u32_e32 v3, v3, v7
	v_cndmask_b32_e32 v2, 0x7c00, v8, vcc_lo
	v_cmp_gt_i32_e32 vcc_lo, 31, v6
	v_cndmask_b32_e32 v3, 0x7c00, v3, vcc_lo
	v_cmp_eq_u32_e32 vcc_lo, 0x40f, v6
	v_cndmask_b32_e32 v2, v3, v2, vcc_lo
	v_lshrrev_b32_e32 v3, 16, v1
	v_and_or_b32 v2, 0x8000, v3, v2
	v_and_b32_e32 v2, 0xffff, v2
	global_store_dword v[4:5], v2, off
.LBB8_1061:
	s_mov_b32 s6, 0
.LBB8_1062:
	s_andn2_b32 vcc_lo, exec_lo, s6
	s_cbranch_vccnz .LBB8_1071
; %bb.1063:
	s_sext_i32_i16 s7, s5
	s_mov_b32 s6, -1
	s_cmp_lt_i32 s7, 6
	s_cbranch_scc1 .LBB8_1069
; %bb.1064:
	s_cmp_gt_i32 s7, 6
	s_cbranch_scc0 .LBB8_1066
; %bb.1065:
	s_mov_b32 s6, 0
	s_waitcnt vmcnt(0)
	global_store_dwordx2 v[4:5], v[0:1], off
.LBB8_1066:
	s_andn2_b32 vcc_lo, exec_lo, s6
	s_cbranch_vccnz .LBB8_1068
; %bb.1067:
	s_waitcnt vmcnt(0)
	v_cvt_f32_f64_e32 v2, v[0:1]
	global_store_dword v[4:5], v2, off
.LBB8_1068:
	s_mov_b32 s6, 0
.LBB8_1069:
	s_andn2_b32 vcc_lo, exec_lo, s6
	s_cbranch_vccnz .LBB8_1071
; %bb.1070:
	s_waitcnt vmcnt(0)
	v_and_or_b32 v2, 0x1ff, v1, v0
	v_lshrrev_b32_e32 v3, 8, v1
	v_bfe_u32 v6, v1, 20, 11
	v_cmp_ne_u32_e32 vcc_lo, 0, v2
	v_sub_nc_u32_e32 v7, 0x3f1, v6
	v_add_nc_u32_e32 v6, 0xfffffc10, v6
	v_cndmask_b32_e64 v2, 0, 1, vcc_lo
	v_and_or_b32 v2, 0xffe, v3, v2
	v_med3_i32 v3, v7, 0, 13
	v_or_b32_e32 v7, 0x1000, v2
	v_lshrrev_b32_e32 v8, v3, v7
	v_lshlrev_b32_e32 v3, v3, v8
	v_cmp_ne_u32_e32 vcc_lo, v3, v7
	v_lshl_or_b32 v7, v6, 12, v2
	v_cndmask_b32_e64 v3, 0, 1, vcc_lo
	v_cmp_gt_i32_e32 vcc_lo, 1, v6
	v_or_b32_e32 v3, v8, v3
	v_cndmask_b32_e32 v3, v7, v3, vcc_lo
	v_and_b32_e32 v7, 7, v3
	v_lshrrev_b32_e32 v3, 2, v3
	v_cmp_lt_i32_e32 vcc_lo, 5, v7
	v_cndmask_b32_e64 v8, 0, 1, vcc_lo
	v_cmp_eq_u32_e32 vcc_lo, 3, v7
	v_cndmask_b32_e64 v7, 0, 1, vcc_lo
	v_cmp_ne_u32_e32 vcc_lo, 0, v2
	v_or_b32_e32 v7, v7, v8
	v_mov_b32_e32 v8, 0x7e00
	v_add_nc_u32_e32 v3, v3, v7
	v_cndmask_b32_e32 v2, 0x7c00, v8, vcc_lo
	v_cmp_gt_i32_e32 vcc_lo, 31, v6
	v_cndmask_b32_e32 v3, 0x7c00, v3, vcc_lo
	v_cmp_eq_u32_e32 vcc_lo, 0x40f, v6
	v_cndmask_b32_e32 v2, v3, v2, vcc_lo
	v_lshrrev_b32_e32 v3, 16, v1
	v_and_or_b32 v2, 0x8000, v3, v2
	global_store_short v[4:5], v2, off
.LBB8_1071:
	s_mov_b32 s6, 0
.LBB8_1072:
	s_andn2_b32 vcc_lo, exec_lo, s6
	s_cbranch_vccnz .LBB8_1088
; %bb.1073:
	s_sext_i32_i16 s7, s5
	s_mov_b32 s6, -1
	s_cmp_lt_i32 s7, 2
	s_cbranch_scc1 .LBB8_1083
; %bb.1074:
	s_cmp_lt_i32 s7, 3
	s_cbranch_scc1 .LBB8_1080
; %bb.1075:
	s_cmp_gt_i32 s7, 3
	s_cbranch_scc0 .LBB8_1077
; %bb.1076:
	s_waitcnt vmcnt(0)
	v_trunc_f64_e32 v[2:3], v[0:1]
	s_mov_b32 s6, 0
	v_ldexp_f64 v[6:7], v[2:3], 0xffffffe0
	v_floor_f64_e32 v[6:7], v[6:7]
	v_fma_f64 v[2:3], 0xc1f00000, v[6:7], v[2:3]
	v_cvt_i32_f64_e32 v7, v[6:7]
	v_cvt_u32_f64_e32 v6, v[2:3]
	global_store_dwordx2 v[4:5], v[6:7], off
.LBB8_1077:
	s_andn2_b32 vcc_lo, exec_lo, s6
	s_cbranch_vccnz .LBB8_1079
; %bb.1078:
	s_waitcnt vmcnt(0)
	v_cvt_i32_f64_e32 v2, v[0:1]
	global_store_dword v[4:5], v2, off
.LBB8_1079:
	s_mov_b32 s6, 0
.LBB8_1080:
	s_andn2_b32 vcc_lo, exec_lo, s6
	s_cbranch_vccnz .LBB8_1082
; %bb.1081:
	s_waitcnt vmcnt(0)
	v_cvt_i32_f64_e32 v2, v[0:1]
	global_store_short v[4:5], v2, off
.LBB8_1082:
	s_mov_b32 s6, 0
.LBB8_1083:
	s_andn2_b32 vcc_lo, exec_lo, s6
	s_cbranch_vccnz .LBB8_1088
; %bb.1084:
	s_sext_i32_i16 s5, s5
	s_cmp_gt_i32 s5, 0
	s_mov_b32 s5, -1
	s_cbranch_scc0 .LBB8_1086
; %bb.1085:
	s_waitcnt vmcnt(0)
	v_cvt_i32_f64_e32 v2, v[0:1]
	s_mov_b32 s5, 0
	global_store_byte v[4:5], v2, off
.LBB8_1086:
	s_andn2_b32 vcc_lo, exec_lo, s5
	s_cbranch_vccnz .LBB8_1088
; %bb.1087:
	s_waitcnt vmcnt(0)
	v_trunc_f64_e32 v[0:1], v[0:1]
	v_ldexp_f64 v[2:3], v[0:1], 0xffffffe0
	v_floor_f64_e32 v[2:3], v[2:3]
	v_fma_f64 v[0:1], 0xc1f00000, v[2:3], v[0:1]
	v_cvt_u32_f64_e32 v0, v[0:1]
	global_store_byte v[4:5], v0, off
.LBB8_1088:
	s_or_b32 exec_lo, exec_lo, s4
	s_and_b32 s34, s34, exec_lo
                                        ; implicit-def: $vgpr8
                                        ; implicit-def: $vgpr42
.LBB8_1089:
	s_or_saveexec_b32 s35, s53
	s_mov_b32 s4, 0
                                        ; implicit-def: $vgpr4_vgpr5
                                        ; implicit-def: $sgpr36
                                        ; implicit-def: $vgpr0_vgpr1
	s_xor_b32 exec_lo, exec_lo, s35
	s_cbranch_execz .LBB8_2097
; %bb.1090:
	s_waitcnt vmcnt(0)
	v_cndmask_b32_e64 v2, 0, 1, s52
	s_andn2_b32 vcc_lo, exec_lo, s52
	s_cbranch_vccnz .LBB8_1096
; %bb.1091:
	s_cmp_lg_u32 s33, 0
	s_mov_b32 s8, 0
	s_cbranch_scc0 .LBB8_1097
; %bb.1092:
	s_min_u32 s10, s50, 15
	s_add_i32 s10, s10, 1
	s_cmp_eq_u32 s50, 2
	s_cbranch_scc1 .LBB8_1098
; %bb.1093:
	v_mov_b32_e32 v0, 0
	v_mov_b32_e32 v60, 0
	;; [unrolled: 1-line block ×3, first 2 shown]
	s_and_b32 s9, s10, 28
	s_add_u32 s4, s28, 0xc4
	s_addc_u32 s5, s29, 0
	s_mov_b32 s11, 0
	s_mov_b64 s[6:7], s[28:29]
.LBB8_1094:                             ; =>This Inner Loop Header: Depth=1
	s_clause 0x1
	s_load_dwordx8 s[12:19], s[6:7], 0x4
	s_load_dwordx4 s[20:23], s[6:7], 0x24
	s_load_dwordx8 s[36:43], s[4:5], 0x0
	s_add_u32 s6, s6, 48
	s_addc_u32 s7, s7, 0
	s_add_i32 s11, s11, 4
	s_add_u32 s4, s4, 32
	s_addc_u32 s5, s5, 0
	s_cmp_lg_u32 s9, s11
	s_waitcnt lgkmcnt(0)
	v_mul_hi_u32 v3, s13, v1
	v_add_nc_u32_e32 v3, v1, v3
	v_lshrrev_b32_e32 v3, s14, v3
	v_mul_hi_u32 v4, s16, v3
	v_mul_lo_u32 v6, v3, s12
	v_add_nc_u32_e32 v4, v3, v4
	v_sub_nc_u32_e32 v1, v1, v6
	v_lshrrev_b32_e32 v4, s17, v4
	v_mul_lo_u32 v6, v1, s36
	v_mul_lo_u32 v9, v1, s37
	v_mul_hi_u32 v5, s19, v4
	v_add_nc_u32_e32 v5, v4, v5
	v_lshrrev_b32_e32 v5, s20, v5
	v_mul_hi_u32 v7, s22, v5
	v_mul_lo_u32 v10, v5, s18
	v_add_nc_u32_e32 v1, v5, v7
	v_mul_lo_u32 v7, v4, s15
	v_sub_nc_u32_e32 v4, v4, v10
	v_lshrrev_b32_e32 v1, s23, v1
	v_mul_lo_u32 v10, v4, s40
	v_mul_lo_u32 v4, v4, s41
	v_sub_nc_u32_e32 v3, v3, v7
	v_mul_lo_u32 v11, v1, s21
	v_mul_lo_u32 v7, v3, s38
	v_mul_lo_u32 v3, v3, s39
	v_sub_nc_u32_e32 v5, v5, v11
	v_add3_u32 v6, v6, v60, v7
	v_mul_lo_u32 v11, v5, s42
	v_mul_lo_u32 v5, v5, s43
	v_add3_u32 v0, v9, v0, v3
	v_add3_u32 v60, v10, v6, v11
	;; [unrolled: 1-line block ×3, first 2 shown]
	s_cbranch_scc1 .LBB8_1094
; %bb.1095:
	s_and_b32 s10, s10, 3
	s_cmp_eq_u32 s10, 0
	s_cbranch_scc0 .LBB8_1099
	s_branch .LBB8_1101
.LBB8_1096:
	s_mov_b32 s8, -1
                                        ; implicit-def: $vgpr60
                                        ; implicit-def: $vgpr0
	s_branch .LBB8_1101
.LBB8_1097:
	v_mov_b32_e32 v60, 0
	v_mov_b32_e32 v0, 0
	s_branch .LBB8_1101
.LBB8_1098:
	v_mov_b32_e32 v60, 0
	v_mov_b32_e32 v0, 0
	;; [unrolled: 1-line block ×3, first 2 shown]
	s_mov_b32 s9, 0
	s_and_b32 s10, s10, 3
	s_cmp_eq_u32 s10, 0
	s_cbranch_scc1 .LBB8_1101
.LBB8_1099:
	s_lshl_b32 s4, s9, 3
	s_mul_i32 s6, s9, 12
	s_add_u32 s4, s28, s4
	s_addc_u32 s5, s29, 0
	s_add_u32 s4, s4, 0xc4
	s_addc_u32 s5, s5, 0
	;; [unrolled: 2-line block ×3, first 2 shown]
	.p2align	6
.LBB8_1100:                             ; =>This Inner Loop Header: Depth=1
	s_clause 0x1
	s_load_dwordx2 s[12:13], s[6:7], 0x4
	s_load_dword s9, s[6:7], 0xc
	s_load_dwordx2 s[14:15], s[4:5], 0x0
	s_add_u32 s6, s6, 12
	s_addc_u32 s7, s7, 0
	s_add_u32 s4, s4, 8
	s_addc_u32 s5, s5, 0
	s_add_i32 s10, s10, -1
	s_cmp_lg_u32 s10, 0
	s_waitcnt lgkmcnt(0)
	v_mul_hi_u32 v3, s13, v1
	v_add_nc_u32_e32 v3, v1, v3
	v_lshrrev_b32_e32 v3, s9, v3
	v_mul_lo_u32 v4, v3, s12
	v_sub_nc_u32_e32 v1, v1, v4
	v_mad_u64_u32 v[60:61], null, v1, s14, v[60:61]
	v_mad_u64_u32 v[0:1], null, v1, s15, v[0:1]
	v_mov_b32_e32 v1, v3
	s_cbranch_scc1 .LBB8_1100
.LBB8_1101:
	s_andn2_b32 vcc_lo, exec_lo, s8
	s_cbranch_vccnz .LBB8_1104
; %bb.1102:
	s_clause 0x1
	s_load_dwordx4 s[4:7], s[28:29], 0x4
	s_load_dwordx2 s[8:9], s[28:29], 0xc4
	s_cmp_lt_u32 s33, 2
	s_waitcnt lgkmcnt(0)
	v_mul_hi_u32 v0, s5, v42
	v_add_nc_u32_e32 v0, v42, v0
	v_lshrrev_b32_e32 v1, s6, v0
	v_mul_lo_u32 v0, v1, s4
	v_sub_nc_u32_e32 v0, v42, v0
	v_mul_lo_u32 v60, v0, s8
	v_mul_lo_u32 v0, v0, s9
	s_cbranch_scc1 .LBB8_1104
; %bb.1103:
	s_clause 0x1
	s_load_dwordx4 s[4:7], s[28:29], 0x10
	s_load_dwordx2 s[8:9], s[28:29], 0xcc
	s_waitcnt lgkmcnt(0)
	v_mul_hi_u32 v3, s5, v1
	v_add_nc_u32_e32 v3, v1, v3
	v_lshrrev_b32_e32 v3, s6, v3
	v_mul_lo_u32 v3, v3, s4
	v_sub_nc_u32_e32 v1, v1, v3
	v_mad_u64_u32 v[60:61], null, v1, s8, v[60:61]
	v_mad_u64_u32 v[0:1], null, v1, s9, v[0:1]
.LBB8_1104:
	v_cmp_ne_u32_e32 vcc_lo, 1, v2
	v_add_nc_u32_e32 v1, 0x80, v42
	s_cbranch_vccnz .LBB8_1110
; %bb.1105:
	s_cmp_lg_u32 s33, 0
	s_mov_b32 s8, 0
	s_cbranch_scc0 .LBB8_1111
; %bb.1106:
	s_min_u32 s10, s50, 15
	s_add_i32 s10, s10, 1
	s_cmp_eq_u32 s50, 2
	s_cbranch_scc1 .LBB8_1112
; %bb.1107:
	v_mov_b32_e32 v6, 0
	v_mov_b32_e32 v58, 0
	;; [unrolled: 1-line block ×3, first 2 shown]
	s_and_b32 s9, s10, 28
	s_add_u32 s4, s28, 0xc4
	s_addc_u32 s5, s29, 0
	s_mov_b32 s11, 0
	s_mov_b64 s[6:7], s[28:29]
.LBB8_1108:                             ; =>This Inner Loop Header: Depth=1
	s_clause 0x1
	s_load_dwordx8 s[12:19], s[6:7], 0x4
	s_load_dwordx4 s[20:23], s[6:7], 0x24
	s_load_dwordx8 s[36:43], s[4:5], 0x0
	s_add_u32 s6, s6, 48
	s_addc_u32 s7, s7, 0
	s_add_i32 s11, s11, 4
	s_add_u32 s4, s4, 32
	s_addc_u32 s5, s5, 0
	s_cmp_lg_u32 s9, s11
	s_waitcnt lgkmcnt(0)
	v_mul_hi_u32 v4, s13, v3
	v_add_nc_u32_e32 v4, v3, v4
	v_lshrrev_b32_e32 v4, s14, v4
	v_mul_hi_u32 v5, s16, v4
	v_mul_lo_u32 v9, v4, s12
	v_add_nc_u32_e32 v5, v4, v5
	v_sub_nc_u32_e32 v3, v3, v9
	v_lshrrev_b32_e32 v5, s17, v5
	v_mul_lo_u32 v9, v3, s36
	v_mul_lo_u32 v11, v3, s37
	v_mul_hi_u32 v7, s19, v5
	v_add_nc_u32_e32 v7, v5, v7
	v_lshrrev_b32_e32 v7, s20, v7
	v_mul_hi_u32 v10, s22, v7
	v_mul_lo_u32 v12, v7, s18
	v_add_nc_u32_e32 v3, v7, v10
	v_mul_lo_u32 v10, v5, s15
	v_sub_nc_u32_e32 v5, v5, v12
	v_lshrrev_b32_e32 v3, s23, v3
	v_mul_lo_u32 v12, v5, s40
	v_mul_lo_u32 v5, v5, s41
	v_sub_nc_u32_e32 v4, v4, v10
	v_mul_lo_u32 v13, v3, s21
	v_mul_lo_u32 v10, v4, s38
	;; [unrolled: 1-line block ×3, first 2 shown]
	v_sub_nc_u32_e32 v7, v7, v13
	v_add3_u32 v9, v9, v58, v10
	v_mul_lo_u32 v13, v7, s42
	v_mul_lo_u32 v7, v7, s43
	v_add3_u32 v4, v11, v6, v4
	v_add3_u32 v58, v12, v9, v13
	;; [unrolled: 1-line block ×3, first 2 shown]
	s_cbranch_scc1 .LBB8_1108
; %bb.1109:
	s_and_b32 s10, s10, 3
	s_cmp_eq_u32 s10, 0
	s_cbranch_scc0 .LBB8_1113
	s_branch .LBB8_1115
.LBB8_1110:
	s_mov_b32 s8, -1
                                        ; implicit-def: $vgpr58
                                        ; implicit-def: $vgpr6
	s_branch .LBB8_1115
.LBB8_1111:
	v_mov_b32_e32 v58, 0
	v_mov_b32_e32 v6, 0
	s_branch .LBB8_1115
.LBB8_1112:
	v_mov_b32_e32 v58, 0
	v_mov_b32_e32 v6, 0
	;; [unrolled: 1-line block ×3, first 2 shown]
	s_mov_b32 s9, 0
	s_and_b32 s10, s10, 3
	s_cmp_eq_u32 s10, 0
	s_cbranch_scc1 .LBB8_1115
.LBB8_1113:
	s_lshl_b32 s4, s9, 3
	s_mul_i32 s6, s9, 12
	s_add_u32 s4, s28, s4
	s_addc_u32 s5, s29, 0
	s_add_u32 s4, s4, 0xc4
	s_addc_u32 s5, s5, 0
	;; [unrolled: 2-line block ×3, first 2 shown]
	.p2align	6
.LBB8_1114:                             ; =>This Inner Loop Header: Depth=1
	s_clause 0x1
	s_load_dwordx2 s[12:13], s[6:7], 0x4
	s_load_dword s9, s[6:7], 0xc
	s_load_dwordx2 s[14:15], s[4:5], 0x0
	s_add_u32 s6, s6, 12
	s_addc_u32 s7, s7, 0
	s_add_u32 s4, s4, 8
	s_addc_u32 s5, s5, 0
	s_add_i32 s10, s10, -1
	s_cmp_lg_u32 s10, 0
	s_waitcnt lgkmcnt(0)
	v_mul_hi_u32 v4, s13, v3
	v_add_nc_u32_e32 v4, v3, v4
	v_lshrrev_b32_e32 v4, s9, v4
	v_mul_lo_u32 v5, v4, s12
	v_sub_nc_u32_e32 v3, v3, v5
	v_mad_u64_u32 v[58:59], null, v3, s14, v[58:59]
	v_mad_u64_u32 v[6:7], null, v3, s15, v[6:7]
	v_mov_b32_e32 v3, v4
	s_cbranch_scc1 .LBB8_1114
.LBB8_1115:
	s_andn2_b32 vcc_lo, exec_lo, s8
	s_cbranch_vccnz .LBB8_1118
; %bb.1116:
	s_clause 0x1
	s_load_dwordx4 s[4:7], s[28:29], 0x4
	s_load_dwordx2 s[8:9], s[28:29], 0xc4
	s_cmp_lt_u32 s33, 2
	s_waitcnt lgkmcnt(0)
	v_mul_hi_u32 v3, s5, v1
	v_add_nc_u32_e32 v3, v1, v3
	v_lshrrev_b32_e32 v3, s6, v3
	v_mul_lo_u32 v4, v3, s4
	v_sub_nc_u32_e32 v1, v1, v4
	v_mul_lo_u32 v58, v1, s8
	v_mul_lo_u32 v6, v1, s9
	s_cbranch_scc1 .LBB8_1118
; %bb.1117:
	s_clause 0x1
	s_load_dwordx4 s[4:7], s[28:29], 0x10
	s_load_dwordx2 s[8:9], s[28:29], 0xcc
	s_waitcnt lgkmcnt(0)
	v_mul_hi_u32 v1, s5, v3
	v_add_nc_u32_e32 v1, v3, v1
	v_lshrrev_b32_e32 v1, s6, v1
	v_mul_lo_u32 v1, v1, s4
	v_sub_nc_u32_e32 v1, v3, v1
	v_mad_u64_u32 v[58:59], null, v1, s8, v[58:59]
	v_mad_u64_u32 v[6:7], null, v1, s9, v[6:7]
.LBB8_1118:
	v_cmp_ne_u32_e32 vcc_lo, 1, v2
	v_add_nc_u32_e32 v1, 0x100, v42
	s_cbranch_vccnz .LBB8_1124
; %bb.1119:
	s_cmp_lg_u32 s33, 0
	s_mov_b32 s8, 0
	s_cbranch_scc0 .LBB8_1125
; %bb.1120:
	s_min_u32 s10, s50, 15
	s_add_i32 s10, s10, 1
	s_cmp_eq_u32 s50, 2
	s_cbranch_scc1 .LBB8_1126
; %bb.1121:
	v_mov_b32_e32 v4, 0
	v_mov_b32_e32 v56, 0
	v_mov_b32_e32 v3, v1
	s_and_b32 s9, s10, 28
	s_add_u32 s4, s28, 0xc4
	s_addc_u32 s5, s29, 0
	s_mov_b32 s11, 0
	s_mov_b64 s[6:7], s[28:29]
.LBB8_1122:                             ; =>This Inner Loop Header: Depth=1
	s_clause 0x1
	s_load_dwordx8 s[12:19], s[6:7], 0x4
	s_load_dwordx4 s[20:23], s[6:7], 0x24
	s_load_dwordx8 s[36:43], s[4:5], 0x0
	s_add_u32 s6, s6, 48
	s_addc_u32 s7, s7, 0
	s_add_i32 s11, s11, 4
	s_add_u32 s4, s4, 32
	s_addc_u32 s5, s5, 0
	s_cmp_lg_u32 s9, s11
	s_waitcnt lgkmcnt(0)
	v_mul_hi_u32 v5, s13, v3
	v_add_nc_u32_e32 v5, v3, v5
	v_lshrrev_b32_e32 v5, s14, v5
	v_mul_hi_u32 v7, s16, v5
	v_mul_lo_u32 v10, v5, s12
	v_add_nc_u32_e32 v7, v5, v7
	v_sub_nc_u32_e32 v3, v3, v10
	v_lshrrev_b32_e32 v7, s17, v7
	v_mul_lo_u32 v10, v3, s36
	v_mul_lo_u32 v12, v3, s37
	v_mul_hi_u32 v9, s19, v7
	v_add_nc_u32_e32 v9, v7, v9
	v_lshrrev_b32_e32 v9, s20, v9
	v_mul_hi_u32 v11, s22, v9
	v_mul_lo_u32 v13, v9, s18
	v_add_nc_u32_e32 v3, v9, v11
	v_mul_lo_u32 v11, v7, s15
	v_sub_nc_u32_e32 v7, v7, v13
	v_lshrrev_b32_e32 v3, s23, v3
	v_mul_lo_u32 v13, v7, s40
	v_mul_lo_u32 v7, v7, s41
	v_sub_nc_u32_e32 v5, v5, v11
	v_mul_lo_u32 v14, v3, s21
	v_mul_lo_u32 v11, v5, s38
	;; [unrolled: 1-line block ×3, first 2 shown]
	v_sub_nc_u32_e32 v9, v9, v14
	v_add3_u32 v10, v10, v56, v11
	v_mul_lo_u32 v14, v9, s42
	v_mul_lo_u32 v9, v9, s43
	v_add3_u32 v4, v12, v4, v5
	v_add3_u32 v56, v13, v10, v14
	;; [unrolled: 1-line block ×3, first 2 shown]
	s_cbranch_scc1 .LBB8_1122
; %bb.1123:
	s_and_b32 s10, s10, 3
	s_cmp_eq_u32 s10, 0
	s_cbranch_scc0 .LBB8_1127
	s_branch .LBB8_1129
.LBB8_1124:
	s_mov_b32 s8, -1
                                        ; implicit-def: $vgpr56
                                        ; implicit-def: $vgpr4
	s_branch .LBB8_1129
.LBB8_1125:
	v_mov_b32_e32 v56, 0
	v_mov_b32_e32 v4, 0
	s_branch .LBB8_1129
.LBB8_1126:
	v_mov_b32_e32 v56, 0
	v_mov_b32_e32 v4, 0
	;; [unrolled: 1-line block ×3, first 2 shown]
	s_mov_b32 s9, 0
	s_and_b32 s10, s10, 3
	s_cmp_eq_u32 s10, 0
	s_cbranch_scc1 .LBB8_1129
.LBB8_1127:
	s_lshl_b32 s4, s9, 3
	s_mul_i32 s6, s9, 12
	s_add_u32 s4, s28, s4
	s_addc_u32 s5, s29, 0
	s_add_u32 s4, s4, 0xc4
	s_addc_u32 s5, s5, 0
	;; [unrolled: 2-line block ×3, first 2 shown]
	.p2align	6
.LBB8_1128:                             ; =>This Inner Loop Header: Depth=1
	s_clause 0x1
	s_load_dwordx2 s[12:13], s[6:7], 0x4
	s_load_dword s9, s[6:7], 0xc
	s_load_dwordx2 s[14:15], s[4:5], 0x0
	s_add_u32 s6, s6, 12
	s_addc_u32 s7, s7, 0
	s_add_u32 s4, s4, 8
	s_addc_u32 s5, s5, 0
	s_add_i32 s10, s10, -1
	s_cmp_lg_u32 s10, 0
	s_waitcnt lgkmcnt(0)
	v_mul_hi_u32 v5, s13, v3
	v_add_nc_u32_e32 v5, v3, v5
	v_lshrrev_b32_e32 v7, s9, v5
	v_mul_lo_u32 v5, v7, s12
	v_sub_nc_u32_e32 v3, v3, v5
	v_mad_u64_u32 v[56:57], null, v3, s14, v[56:57]
	v_mad_u64_u32 v[4:5], null, v3, s15, v[4:5]
	v_mov_b32_e32 v3, v7
	s_cbranch_scc1 .LBB8_1128
.LBB8_1129:
	s_andn2_b32 vcc_lo, exec_lo, s8
	s_cbranch_vccnz .LBB8_1132
; %bb.1130:
	s_clause 0x1
	s_load_dwordx4 s[4:7], s[28:29], 0x4
	s_load_dwordx2 s[8:9], s[28:29], 0xc4
	s_cmp_lt_u32 s33, 2
	s_waitcnt lgkmcnt(0)
	v_mul_hi_u32 v3, s5, v1
	v_add_nc_u32_e32 v3, v1, v3
	v_lshrrev_b32_e32 v3, s6, v3
	v_mul_lo_u32 v4, v3, s4
	v_sub_nc_u32_e32 v1, v1, v4
	v_mul_lo_u32 v56, v1, s8
	v_mul_lo_u32 v4, v1, s9
	s_cbranch_scc1 .LBB8_1132
; %bb.1131:
	s_clause 0x1
	s_load_dwordx4 s[4:7], s[28:29], 0x10
	s_load_dwordx2 s[8:9], s[28:29], 0xcc
	s_waitcnt lgkmcnt(0)
	v_mul_hi_u32 v1, s5, v3
	v_add_nc_u32_e32 v1, v3, v1
	v_lshrrev_b32_e32 v1, s6, v1
	v_mul_lo_u32 v1, v1, s4
	v_sub_nc_u32_e32 v1, v3, v1
	v_mad_u64_u32 v[56:57], null, v1, s8, v[56:57]
	v_mad_u64_u32 v[4:5], null, v1, s9, v[4:5]
.LBB8_1132:
	v_cmp_ne_u32_e32 vcc_lo, 1, v2
	s_cbranch_vccnz .LBB8_1138
; %bb.1133:
	s_cmp_lg_u32 s33, 0
	s_mov_b32 s8, 0
	s_cbranch_scc0 .LBB8_1139
; %bb.1134:
	s_min_u32 s10, s50, 15
	s_add_i32 s10, s10, 1
	s_cmp_eq_u32 s50, 2
	s_cbranch_scc1 .LBB8_1140
; %bb.1135:
	v_mov_b32_e32 v2, 0
	v_mov_b32_e32 v46, 0
	v_mov_b32_e32 v1, v8
	s_and_b32 s9, s10, 28
	s_add_u32 s4, s28, 0xc4
	s_addc_u32 s5, s29, 0
	s_mov_b32 s11, 0
	s_mov_b64 s[6:7], s[28:29]
.LBB8_1136:                             ; =>This Inner Loop Header: Depth=1
	s_clause 0x1
	s_load_dwordx8 s[12:19], s[6:7], 0x4
	s_load_dwordx4 s[20:23], s[6:7], 0x24
	s_load_dwordx8 s[36:43], s[4:5], 0x0
	s_add_u32 s6, s6, 48
	s_addc_u32 s7, s7, 0
	s_add_i32 s11, s11, 4
	s_add_u32 s4, s4, 32
	s_addc_u32 s5, s5, 0
	s_cmp_lg_u32 s9, s11
	s_waitcnt lgkmcnt(0)
	v_mul_hi_u32 v3, s13, v1
	v_add_nc_u32_e32 v3, v1, v3
	v_lshrrev_b32_e32 v3, s14, v3
	v_mul_hi_u32 v5, s16, v3
	v_mul_lo_u32 v9, v3, s12
	v_add_nc_u32_e32 v5, v3, v5
	v_sub_nc_u32_e32 v1, v1, v9
	v_lshrrev_b32_e32 v5, s17, v5
	v_mul_lo_u32 v9, v1, s36
	v_mul_lo_u32 v11, v1, s37
	v_mul_hi_u32 v7, s19, v5
	v_add_nc_u32_e32 v7, v5, v7
	v_lshrrev_b32_e32 v7, s20, v7
	v_mul_hi_u32 v10, s22, v7
	v_mul_lo_u32 v12, v7, s18
	v_add_nc_u32_e32 v1, v7, v10
	v_mul_lo_u32 v10, v5, s15
	v_sub_nc_u32_e32 v5, v5, v12
	v_lshrrev_b32_e32 v1, s23, v1
	v_mul_lo_u32 v12, v5, s40
	v_mul_lo_u32 v5, v5, s41
	v_sub_nc_u32_e32 v3, v3, v10
	v_mul_lo_u32 v13, v1, s21
	v_mul_lo_u32 v10, v3, s38
	;; [unrolled: 1-line block ×3, first 2 shown]
	v_sub_nc_u32_e32 v7, v7, v13
	v_add3_u32 v9, v9, v46, v10
	v_mul_lo_u32 v13, v7, s42
	v_mul_lo_u32 v7, v7, s43
	v_add3_u32 v2, v11, v2, v3
	v_add3_u32 v46, v12, v9, v13
	;; [unrolled: 1-line block ×3, first 2 shown]
	s_cbranch_scc1 .LBB8_1136
; %bb.1137:
	s_and_b32 s10, s10, 3
	s_cmp_eq_u32 s10, 0
	s_cbranch_scc0 .LBB8_1141
	s_branch .LBB8_1143
.LBB8_1138:
	s_mov_b32 s8, -1
                                        ; implicit-def: $vgpr46
                                        ; implicit-def: $vgpr2
	s_branch .LBB8_1143
.LBB8_1139:
	v_mov_b32_e32 v46, 0
	v_mov_b32_e32 v2, 0
	s_branch .LBB8_1143
.LBB8_1140:
	v_mov_b32_e32 v46, 0
	v_mov_b32_e32 v2, 0
	;; [unrolled: 1-line block ×3, first 2 shown]
	s_mov_b32 s9, 0
	s_and_b32 s10, s10, 3
	s_cmp_eq_u32 s10, 0
	s_cbranch_scc1 .LBB8_1143
.LBB8_1141:
	s_lshl_b32 s4, s9, 3
	s_mul_i32 s6, s9, 12
	s_add_u32 s4, s28, s4
	s_addc_u32 s5, s29, 0
	s_add_u32 s4, s4, 0xc4
	s_addc_u32 s5, s5, 0
	;; [unrolled: 2-line block ×3, first 2 shown]
	.p2align	6
.LBB8_1142:                             ; =>This Inner Loop Header: Depth=1
	s_clause 0x1
	s_load_dwordx2 s[12:13], s[6:7], 0x4
	s_load_dword s9, s[6:7], 0xc
	s_load_dwordx2 s[14:15], s[4:5], 0x0
	s_add_u32 s6, s6, 12
	s_addc_u32 s7, s7, 0
	s_add_u32 s4, s4, 8
	s_addc_u32 s5, s5, 0
	s_add_i32 s10, s10, -1
	s_cmp_lg_u32 s10, 0
	s_waitcnt lgkmcnt(0)
	v_mul_hi_u32 v3, s13, v1
	v_add_nc_u32_e32 v3, v1, v3
	v_lshrrev_b32_e32 v5, s9, v3
	v_mul_lo_u32 v3, v5, s12
	v_sub_nc_u32_e32 v1, v1, v3
	v_mad_u64_u32 v[46:47], null, v1, s14, v[46:47]
	v_mad_u64_u32 v[2:3], null, v1, s15, v[2:3]
	v_mov_b32_e32 v1, v5
	s_cbranch_scc1 .LBB8_1142
.LBB8_1143:
	s_andn2_b32 vcc_lo, exec_lo, s8
	s_cbranch_vccnz .LBB8_1146
; %bb.1144:
	s_clause 0x1
	s_load_dwordx4 s[4:7], s[28:29], 0x4
	s_load_dwordx2 s[8:9], s[28:29], 0xc4
	s_cmp_lt_u32 s33, 2
	s_waitcnt lgkmcnt(0)
	v_mul_hi_u32 v1, s5, v8
	v_add_nc_u32_e32 v1, v8, v1
	v_lshrrev_b32_e32 v1, s6, v1
	v_mul_lo_u32 v2, v1, s4
	v_sub_nc_u32_e32 v2, v8, v2
	v_mul_lo_u32 v46, v2, s8
	v_mul_lo_u32 v2, v2, s9
	s_cbranch_scc1 .LBB8_1146
; %bb.1145:
	s_clause 0x1
	s_load_dwordx4 s[4:7], s[28:29], 0x10
	s_load_dwordx2 s[8:9], s[28:29], 0xcc
	s_waitcnt lgkmcnt(0)
	v_mul_hi_u32 v3, s5, v1
	v_add_nc_u32_e32 v3, v1, v3
	v_lshrrev_b32_e32 v3, s6, v3
	v_mul_lo_u32 v3, v3, s4
	v_sub_nc_u32_e32 v1, v1, v3
	v_mad_u64_u32 v[46:47], null, v1, s8, v[46:47]
	v_mad_u64_u32 v[2:3], null, v1, s9, v[2:3]
.LBB8_1146:
	s_clause 0x1
	s_load_dwordx4 s[28:31], s[28:29], 0x148
	s_load_dword s27, s[26:27], 0x160
	s_waitcnt lgkmcnt(0)
	v_add_co_u32 v7, s4, s30, v0
	v_add_co_ci_u32_e64 v8, null, s31, 0, s4
	s_bfe_u32 s4, s27, 0x80010
	s_cmp_lt_i32 s4, 11
	s_cbranch_scc1 .LBB8_1153
; %bb.1147:
	s_and_b32 s5, 0xffff, s4
	s_mov_b32 s7, 0
	s_cmp_gt_i32 s5, 25
	s_cbranch_scc0 .LBB8_1155
; %bb.1148:
	s_cmp_gt_i32 s5, 28
	s_cbranch_scc0 .LBB8_1156
; %bb.1149:
	;; [unrolled: 3-line block ×4, first 2 shown]
	s_cmp_eq_u32 s5, 46
	s_mov_b32 s9, 0
	s_cbranch_scc0 .LBB8_1161
; %bb.1152:
	global_load_dword v0, v[7:8], off
	s_mov_b32 s6, 0
	s_mov_b32 s8, -1
	s_waitcnt vmcnt(0)
	v_lshlrev_b32_e32 v0, 16, v0
	v_cvt_f64_f32_e32 v[0:1], v0
	s_branch .LBB8_1163
.LBB8_1153:
	s_mov_b32 s8, 0
	s_mov_b32 s26, s34
                                        ; implicit-def: $vgpr0_vgpr1
	s_cbranch_execnz .LBB8_1226
.LBB8_1154:
	s_andn2_b32 vcc_lo, exec_lo, s8
	s_cbranch_vccz .LBB8_1271
	s_branch .LBB8_2095
.LBB8_1155:
	s_mov_b32 s8, 0
	s_mov_b32 s6, 0
                                        ; implicit-def: $vgpr0_vgpr1
	s_cbranch_execnz .LBB8_1193
	s_branch .LBB8_1222
.LBB8_1156:
	s_mov_b32 s9, -1
	s_mov_b32 s8, 0
	s_mov_b32 s6, 0
                                        ; implicit-def: $vgpr0_vgpr1
	s_branch .LBB8_1172
.LBB8_1157:
	s_mov_b32 s8, 0
	s_mov_b32 s6, 0
                                        ; implicit-def: $vgpr0_vgpr1
	s_cbranch_execnz .LBB8_1168
	s_branch .LBB8_1171
.LBB8_1158:
	s_mov_b32 s9, -1
	s_mov_b32 s8, 0
	s_mov_b32 s6, 0
	s_branch .LBB8_1162
.LBB8_1159:
	s_andn2_saveexec_b32 s9, s9
	s_cbranch_execz .LBB8_1002
.LBB8_1160:
	v_add_f32_e64 v3, 0x46000000, |v2|
	s_andn2_b32 s8, s8, exec_lo
	v_and_b32_e32 v3, 0xff, v3
	v_cmp_ne_u32_e32 vcc_lo, 0, v3
	s_and_b32 s10, vcc_lo, exec_lo
	s_or_b32 s8, s8, s10
	s_or_b32 exec_lo, exec_lo, s9
	v_mov_b32_e32 v6, 0
	s_and_saveexec_b32 s9, s8
	s_cbranch_execnz .LBB8_1003
	s_branch .LBB8_1004
.LBB8_1161:
	s_mov_b32 s6, -1
	s_mov_b32 s8, 0
.LBB8_1162:
                                        ; implicit-def: $vgpr0_vgpr1
.LBB8_1163:
	s_and_b32 vcc_lo, exec_lo, s9
	s_cbranch_vccz .LBB8_1166
; %bb.1164:
	s_cmp_eq_u32 s5, 44
	s_cbranch_scc0 .LBB8_1167
; %bb.1165:
	global_load_ubyte v3, v[7:8], off
	s_mov_b32 s6, 0
	s_mov_b32 s8, -1
	s_waitcnt vmcnt(0)
	v_lshlrev_b32_e32 v0, 23, v3
	v_cmp_ne_u32_e32 vcc_lo, 0xff, v3
	v_cvt_f64_f32_e32 v[0:1], v0
	v_cndmask_b32_e32 v0, 0x20000000, v0, vcc_lo
	v_cndmask_b32_e32 v1, 0x7ff80000, v1, vcc_lo
	v_cmp_ne_u32_e32 vcc_lo, 0, v3
	v_cndmask_b32_e32 v1, 0x38000000, v1, vcc_lo
	v_cndmask_b32_e32 v0, 0, v0, vcc_lo
.LBB8_1166:
	s_branch .LBB8_1171
.LBB8_1167:
	s_mov_b32 s6, -1
                                        ; implicit-def: $vgpr0_vgpr1
	s_branch .LBB8_1171
.LBB8_1168:
	s_cmp_eq_u32 s5, 29
	s_cbranch_scc0 .LBB8_1170
; %bb.1169:
	global_load_dwordx2 v[0:1], v[7:8], off
	s_mov_b32 s6, 0
	s_mov_b32 s8, -1
	s_mov_b32 s9, 0
	s_waitcnt vmcnt(0)
	v_cvt_f64_u32_e32 v[9:10], v1
	v_cvt_f64_u32_e32 v[0:1], v0
	v_ldexp_f64 v[9:10], v[9:10], 32
	v_add_f64 v[0:1], v[9:10], v[0:1]
	s_branch .LBB8_1172
.LBB8_1170:
	s_mov_b32 s6, -1
                                        ; implicit-def: $vgpr0_vgpr1
.LBB8_1171:
	s_mov_b32 s9, 0
.LBB8_1172:
	s_and_b32 vcc_lo, exec_lo, s9
	s_cbranch_vccz .LBB8_1192
; %bb.1173:
	s_cmp_lt_i32 s5, 27
	s_cbranch_scc1 .LBB8_1176
; %bb.1174:
	s_cmp_gt_i32 s5, 27
	s_cbranch_scc0 .LBB8_1177
; %bb.1175:
	global_load_dword v0, v[7:8], off
	s_mov_b32 s8, 0
	s_waitcnt vmcnt(0)
	v_cvt_f64_u32_e32 v[0:1], v0
	s_branch .LBB8_1178
.LBB8_1176:
	s_mov_b32 s8, -1
                                        ; implicit-def: $vgpr0_vgpr1
	s_branch .LBB8_1181
.LBB8_1177:
	s_mov_b32 s8, -1
                                        ; implicit-def: $vgpr0_vgpr1
.LBB8_1178:
	s_andn2_b32 vcc_lo, exec_lo, s8
	s_cbranch_vccnz .LBB8_1180
; %bb.1179:
	global_load_ushort v0, v[7:8], off
	s_waitcnt vmcnt(0)
	v_cvt_f64_u32_e32 v[0:1], v0
.LBB8_1180:
	s_mov_b32 s8, 0
.LBB8_1181:
	s_andn2_b32 vcc_lo, exec_lo, s8
	s_cbranch_vccnz .LBB8_1191
; %bb.1182:
	global_load_ubyte v3, v[7:8], off
	s_mov_b32 s8, 0
	s_mov_b32 s9, exec_lo
	s_waitcnt vmcnt(0)
	v_cmpx_lt_i16_e32 0x7f, v3
	s_xor_b32 s9, exec_lo, s9
	s_cbranch_execz .LBB8_1186
; %bb.1183:
	s_mov_b32 s8, -1
	s_mov_b32 s10, exec_lo
	v_cmpx_eq_u16_e32 0x80, v3
; %bb.1184:
	s_xor_b32 s8, exec_lo, -1
; %bb.1185:
	s_or_b32 exec_lo, exec_lo, s10
	s_and_b32 s8, s8, exec_lo
.LBB8_1186:
	s_or_saveexec_b32 s9, s9
	v_bfrev_b32_e32 v0, 4
	v_mov_b32_e32 v1, 0x7ff80000
	s_xor_b32 exec_lo, exec_lo, s9
; %bb.1187:
	v_cmp_ne_u16_e32 vcc_lo, 0, v3
	v_mov_b32_e32 v0, 0
	v_mov_b32_e32 v1, 0
	s_andn2_b32 s8, s8, exec_lo
	s_and_b32 s10, vcc_lo, exec_lo
	s_or_b32 s8, s8, s10
; %bb.1188:
	s_or_b32 exec_lo, exec_lo, s9
	s_and_saveexec_b32 s9, s8
	s_cbranch_execz .LBB8_1190
; %bb.1189:
	v_and_b32_e32 v0, 0xffff, v3
	v_lshlrev_b32_e32 v3, 24, v3
	v_and_b32_e32 v1, 7, v0
	v_bfe_u32 v10, v0, 3, 4
	v_ffbh_u32_e32 v5, v1
	v_cmp_eq_u32_e32 vcc_lo, 0, v10
	v_min_u32_e32 v5, 32, v5
	v_subrev_nc_u32_e32 v9, 28, v5
	v_sub_nc_u32_e32 v5, 29, v5
	v_lshlrev_b32_e32 v0, v9, v0
	v_cndmask_b32_e32 v5, v10, v5, vcc_lo
	v_and_b32_e32 v0, 7, v0
	v_cndmask_b32_e32 v0, v1, v0, vcc_lo
	v_and_b32_e32 v1, 0x80000000, v3
	v_lshl_add_u32 v3, v5, 23, 0x3b800000
	v_lshlrev_b32_e32 v0, 20, v0
	v_or3_b32 v0, v1, v3, v0
	v_cvt_f64_f32_e32 v[0:1], v0
.LBB8_1190:
	s_or_b32 exec_lo, exec_lo, s9
.LBB8_1191:
	s_mov_b32 s8, -1
.LBB8_1192:
	s_branch .LBB8_1222
.LBB8_1193:
	s_cmp_gt_i32 s5, 22
	s_cbranch_scc0 .LBB8_1205
; %bb.1194:
	s_cmp_lt_i32 s5, 24
	s_cbranch_scc1 .LBB8_1206
; %bb.1195:
	s_cmp_gt_i32 s5, 24
	s_cbranch_scc0 .LBB8_1207
; %bb.1196:
	global_load_ubyte v3, v[7:8], off
	s_mov_b32 s8, exec_lo
	s_waitcnt vmcnt(0)
	v_cmpx_lt_i16_e32 0x7f, v3
	s_xor_b32 s8, exec_lo, s8
	s_cbranch_execz .LBB8_1200
; %bb.1197:
	s_mov_b32 s7, -1
	s_mov_b32 s9, exec_lo
	v_cmpx_eq_u16_e32 0x80, v3
; %bb.1198:
	s_xor_b32 s7, exec_lo, -1
; %bb.1199:
	s_or_b32 exec_lo, exec_lo, s9
	s_and_b32 s7, s7, exec_lo
.LBB8_1200:
	s_or_saveexec_b32 s8, s8
	v_bfrev_b32_e32 v0, 4
	v_mov_b32_e32 v1, 0x7ff80000
	s_xor_b32 exec_lo, exec_lo, s8
; %bb.1201:
	v_cmp_ne_u16_e32 vcc_lo, 0, v3
	v_mov_b32_e32 v0, 0
	v_mov_b32_e32 v1, 0
	s_andn2_b32 s7, s7, exec_lo
	s_and_b32 s9, vcc_lo, exec_lo
	s_or_b32 s7, s7, s9
; %bb.1202:
	s_or_b32 exec_lo, exec_lo, s8
	s_and_saveexec_b32 s8, s7
	s_cbranch_execz .LBB8_1204
; %bb.1203:
	v_and_b32_e32 v0, 0xffff, v3
	v_lshlrev_b32_e32 v3, 24, v3
	v_and_b32_e32 v1, 3, v0
	v_bfe_u32 v10, v0, 2, 5
	v_ffbh_u32_e32 v5, v1
	v_cmp_eq_u32_e32 vcc_lo, 0, v10
	v_min_u32_e32 v5, 32, v5
	v_subrev_nc_u32_e32 v9, 29, v5
	v_sub_nc_u32_e32 v5, 30, v5
	v_lshlrev_b32_e32 v0, v9, v0
	v_cndmask_b32_e32 v5, v10, v5, vcc_lo
	v_and_b32_e32 v0, 3, v0
	v_cndmask_b32_e32 v0, v1, v0, vcc_lo
	v_and_b32_e32 v1, 0x80000000, v3
	v_lshl_add_u32 v3, v5, 23, 0x37800000
	v_lshlrev_b32_e32 v0, 21, v0
	v_or3_b32 v0, v1, v3, v0
	v_cvt_f64_f32_e32 v[0:1], v0
.LBB8_1204:
	s_or_b32 exec_lo, exec_lo, s8
	s_mov_b32 s7, 0
	s_branch .LBB8_1208
.LBB8_1205:
                                        ; implicit-def: $vgpr0_vgpr1
	s_mov_b32 s7, 0
	s_branch .LBB8_1214
.LBB8_1206:
	s_mov_b32 s7, -1
                                        ; implicit-def: $vgpr0_vgpr1
	s_branch .LBB8_1211
.LBB8_1207:
	s_mov_b32 s7, -1
                                        ; implicit-def: $vgpr0_vgpr1
.LBB8_1208:
	s_and_b32 vcc_lo, exec_lo, s7
	s_cbranch_vccz .LBB8_1210
; %bb.1209:
	global_load_ubyte v0, v[7:8], off
	s_waitcnt vmcnt(0)
	v_lshlrev_b32_e32 v0, 24, v0
	v_and_b32_e32 v1, 0x7f000000, v0
	v_ffbh_u32_e32 v3, v1
	v_add_nc_u32_e32 v9, 0x1000000, v1
	v_cmp_ne_u32_e32 vcc_lo, 0, v1
	v_min_u32_e32 v3, 32, v3
	v_sub_nc_u32_e64 v3, v3, 4 clamp
	v_lshlrev_b32_e32 v5, v3, v1
	v_lshlrev_b32_e32 v3, 23, v3
	v_lshrrev_b32_e32 v5, 4, v5
	v_sub_nc_u32_e32 v3, v5, v3
	v_ashrrev_i32_e32 v5, 8, v9
	v_add_nc_u32_e32 v3, 0x3c000000, v3
	v_and_or_b32 v3, 0x7f800000, v5, v3
	v_cndmask_b32_e32 v1, 0, v3, vcc_lo
	v_and_or_b32 v0, 0x80000000, v0, v1
	v_cvt_f64_f32_e32 v[0:1], v0
.LBB8_1210:
	s_mov_b32 s7, 0
.LBB8_1211:
	s_andn2_b32 vcc_lo, exec_lo, s7
	s_cbranch_vccnz .LBB8_1213
; %bb.1212:
	global_load_ubyte v0, v[7:8], off
	s_waitcnt vmcnt(0)
	v_lshlrev_b32_e32 v1, 25, v0
	v_lshlrev_b16 v0, 8, v0
	v_lshrrev_b32_e32 v3, 4, v1
	v_and_or_b32 v5, 0x7f00, v0, 0.5
	v_cmp_gt_u32_e32 vcc_lo, 0x8000000, v1
	v_bfe_i32 v0, v0, 0, 16
	v_or_b32_e32 v3, 0x70000000, v3
	v_add_f32_e32 v5, -0.5, v5
	v_mul_f32_e32 v3, 0x7800000, v3
	v_cndmask_b32_e32 v1, v3, v5, vcc_lo
	v_and_or_b32 v0, 0x80000000, v0, v1
	v_cvt_f64_f32_e32 v[0:1], v0
.LBB8_1213:
	s_mov_b32 s8, -1
	s_mov_b32 s7, 0
	s_cbranch_execnz .LBB8_1222
.LBB8_1214:
	s_cmp_gt_i32 s5, 14
	s_cbranch_scc0 .LBB8_1217
; %bb.1215:
	s_cmp_eq_u32 s5, 15
	s_cbranch_scc0 .LBB8_1218
; %bb.1216:
	global_load_ushort v0, v[7:8], off
	s_mov_b32 s6, 0
	s_mov_b32 s8, -1
	s_waitcnt vmcnt(0)
	v_lshlrev_b32_e32 v0, 16, v0
	v_cvt_f64_f32_e32 v[0:1], v0
	s_branch .LBB8_1220
.LBB8_1217:
	s_mov_b32 s7, -1
	s_branch .LBB8_1219
.LBB8_1218:
	s_mov_b32 s6, -1
.LBB8_1219:
                                        ; implicit-def: $vgpr0_vgpr1
.LBB8_1220:
	s_and_b32 vcc_lo, exec_lo, s7
	s_mov_b32 s7, 0
	s_cbranch_vccz .LBB8_1222
; %bb.1221:
	s_cmp_lg_u32 s5, 11
	s_mov_b32 s7, -1
	s_cselect_b32 s6, -1, 0
.LBB8_1222:
	s_and_b32 vcc_lo, exec_lo, s6
	s_mov_b32 s26, s34
	s_cbranch_vccnz .LBB8_1283
; %bb.1223:
	s_andn2_b32 vcc_lo, exec_lo, s7
	s_cbranch_vccnz .LBB8_1225
.LBB8_1224:
	global_load_ubyte v0, v[7:8], off
	s_mov_b32 s8, -1
	s_waitcnt vmcnt(0)
	v_cmp_ne_u16_e32 vcc_lo, 0, v0
	v_mov_b32_e32 v0, 0
	v_cndmask_b32_e64 v1, 0, 0x3ff00000, vcc_lo
.LBB8_1225:
	s_branch .LBB8_1154
.LBB8_1226:
	s_and_b32 s4, 0xffff, s4
	s_cmp_lt_i32 s4, 5
	s_cbranch_scc1 .LBB8_1231
; %bb.1227:
	s_cmp_lt_i32 s4, 8
	s_cbranch_scc1 .LBB8_1232
; %bb.1228:
	;; [unrolled: 3-line block ×3, first 2 shown]
	s_cmp_gt_i32 s4, 9
	s_cbranch_scc0 .LBB8_1234
; %bb.1230:
	global_load_dwordx2 v[0:1], v[7:8], off
	s_mov_b32 s5, 0
	s_branch .LBB8_1235
.LBB8_1231:
                                        ; implicit-def: $vgpr0_vgpr1
	s_branch .LBB8_1252
.LBB8_1232:
                                        ; implicit-def: $vgpr0_vgpr1
	s_branch .LBB8_1241
.LBB8_1233:
	s_mov_b32 s5, -1
                                        ; implicit-def: $vgpr0_vgpr1
	s_branch .LBB8_1238
.LBB8_1234:
	s_mov_b32 s5, -1
                                        ; implicit-def: $vgpr0_vgpr1
.LBB8_1235:
	s_andn2_b32 vcc_lo, exec_lo, s5
	s_cbranch_vccnz .LBB8_1237
; %bb.1236:
	global_load_dword v0, v[7:8], off
	s_waitcnt vmcnt(0)
	v_cvt_f64_f32_e32 v[0:1], v0
.LBB8_1237:
	s_mov_b32 s5, 0
.LBB8_1238:
	s_andn2_b32 vcc_lo, exec_lo, s5
	s_cbranch_vccnz .LBB8_1240
; %bb.1239:
	global_load_dword v0, v[7:8], off
	s_waitcnt vmcnt(0)
	v_cvt_f32_f16_e32 v0, v0
	v_cvt_f64_f32_e32 v[0:1], v0
.LBB8_1240:
	s_cbranch_execnz .LBB8_1251
.LBB8_1241:
	s_cmp_lt_i32 s4, 6
	s_cbranch_scc1 .LBB8_1244
; %bb.1242:
	s_cmp_gt_i32 s4, 6
	s_cbranch_scc0 .LBB8_1245
; %bb.1243:
	global_load_dwordx2 v[0:1], v[7:8], off
	s_mov_b32 s5, 0
	s_branch .LBB8_1246
.LBB8_1244:
	s_mov_b32 s5, -1
                                        ; implicit-def: $vgpr0_vgpr1
	s_branch .LBB8_1249
.LBB8_1245:
	s_mov_b32 s5, -1
                                        ; implicit-def: $vgpr0_vgpr1
.LBB8_1246:
	s_andn2_b32 vcc_lo, exec_lo, s5
	s_cbranch_vccnz .LBB8_1248
; %bb.1247:
	global_load_dword v0, v[7:8], off
	s_waitcnt vmcnt(0)
	v_cvt_f64_f32_e32 v[0:1], v0
.LBB8_1248:
	s_mov_b32 s5, 0
.LBB8_1249:
	s_andn2_b32 vcc_lo, exec_lo, s5
	s_cbranch_vccnz .LBB8_1251
; %bb.1250:
	global_load_ushort v0, v[7:8], off
	s_waitcnt vmcnt(0)
	v_cvt_f32_f16_e32 v0, v0
	v_cvt_f64_f32_e32 v[0:1], v0
.LBB8_1251:
	s_cbranch_execnz .LBB8_1270
.LBB8_1252:
	s_cmp_lt_i32 s4, 2
	s_cbranch_scc1 .LBB8_1256
; %bb.1253:
	s_cmp_lt_i32 s4, 3
	s_cbranch_scc1 .LBB8_1257
; %bb.1254:
	s_cmp_gt_i32 s4, 3
	s_cbranch_scc0 .LBB8_1258
; %bb.1255:
	global_load_dwordx2 v[0:1], v[7:8], off
	s_mov_b32 s5, 0
	s_waitcnt vmcnt(0)
	v_cvt_f64_i32_e32 v[9:10], v1
	v_cvt_f64_u32_e32 v[0:1], v0
	v_ldexp_f64 v[9:10], v[9:10], 32
	v_add_f64 v[0:1], v[9:10], v[0:1]
	s_branch .LBB8_1259
.LBB8_1256:
                                        ; implicit-def: $vgpr0_vgpr1
	s_branch .LBB8_1265
.LBB8_1257:
	s_mov_b32 s5, -1
                                        ; implicit-def: $vgpr0_vgpr1
	s_branch .LBB8_1262
.LBB8_1258:
	s_mov_b32 s5, -1
                                        ; implicit-def: $vgpr0_vgpr1
.LBB8_1259:
	s_andn2_b32 vcc_lo, exec_lo, s5
	s_cbranch_vccnz .LBB8_1261
; %bb.1260:
	global_load_dword v0, v[7:8], off
	s_waitcnt vmcnt(0)
	v_cvt_f64_i32_e32 v[0:1], v0
.LBB8_1261:
	s_mov_b32 s5, 0
.LBB8_1262:
	s_andn2_b32 vcc_lo, exec_lo, s5
	s_cbranch_vccnz .LBB8_1264
; %bb.1263:
	global_load_sshort v0, v[7:8], off
	s_waitcnt vmcnt(0)
	v_cvt_f64_i32_e32 v[0:1], v0
.LBB8_1264:
	s_cbranch_execnz .LBB8_1270
.LBB8_1265:
	s_cmp_gt_i32 s4, 0
	s_mov_b32 s4, 0
	s_cbranch_scc0 .LBB8_1267
; %bb.1266:
	global_load_sbyte v0, v[7:8], off
	s_waitcnt vmcnt(0)
	v_cvt_f64_i32_e32 v[0:1], v0
	s_branch .LBB8_1268
.LBB8_1267:
	s_mov_b32 s4, -1
                                        ; implicit-def: $vgpr0_vgpr1
.LBB8_1268:
	s_andn2_b32 vcc_lo, exec_lo, s4
	s_cbranch_vccnz .LBB8_1270
; %bb.1269:
	global_load_ubyte v0, v[7:8], off
	s_waitcnt vmcnt(0)
	v_cvt_f64_u32_e32 v[0:1], v0
.LBB8_1270:
.LBB8_1271:
	v_add_co_u32 v5, s5, s30, v6
	s_lshr_b32 s4, s27, 16
	v_add_co_ci_u32_e64 v6, null, s31, 0, s5
	s_and_b32 s4, s4, 0xff
	s_cmp_lt_i32 s4, 11
	s_cbranch_scc1 .LBB8_1278
; %bb.1272:
	s_and_b32 s5, 0xffff, s4
	s_mov_b32 s7, 0
	s_cmp_gt_i32 s5, 25
	s_cbranch_scc0 .LBB8_1280
; %bb.1273:
	s_cmp_gt_i32 s5, 28
	s_cbranch_scc0 .LBB8_1281
; %bb.1274:
	;; [unrolled: 3-line block ×4, first 2 shown]
	s_cmp_eq_u32 s5, 46
	s_mov_b32 s9, 0
	s_cbranch_scc0 .LBB8_1287
; %bb.1277:
	global_load_dword v3, v[5:6], off
	s_mov_b32 s6, 0
	s_mov_b32 s8, -1
	s_waitcnt vmcnt(0)
	v_lshlrev_b32_e32 v3, 16, v3
	v_cvt_f64_f32_e32 v[44:45], v3
	s_branch .LBB8_1289
.LBB8_1278:
	s_mov_b32 s8, 0
                                        ; implicit-def: $vgpr44_vgpr45
	s_cbranch_execnz .LBB8_1354
.LBB8_1279:
	s_andn2_b32 vcc_lo, exec_lo, s8
	s_cbranch_vccnz .LBB8_2095
	s_branch .LBB8_1401
.LBB8_1280:
	s_mov_b32 s8, 0
	s_mov_b32 s6, 0
                                        ; implicit-def: $vgpr44_vgpr45
	s_cbranch_execnz .LBB8_1320
	s_branch .LBB8_1350
.LBB8_1281:
	s_mov_b32 s9, -1
	s_mov_b32 s8, 0
	s_mov_b32 s6, 0
                                        ; implicit-def: $vgpr44_vgpr45
	s_branch .LBB8_1299
.LBB8_1282:
	s_mov_b32 s9, -1
	s_mov_b32 s8, 0
	s_mov_b32 s6, 0
                                        ; implicit-def: $vgpr44_vgpr45
	s_branch .LBB8_1294
.LBB8_1283:
	s_or_b32 s26, s34, exec_lo
	s_trap 2
	s_cbranch_execz .LBB8_1224
	s_branch .LBB8_1225
.LBB8_1284:
	s_mov_b32 s9, -1
	s_mov_b32 s8, 0
	s_mov_b32 s6, 0
	s_branch .LBB8_1288
.LBB8_1285:
	s_andn2_saveexec_b32 s10, s10
	s_cbranch_execz .LBB8_1014
.LBB8_1286:
	v_add_f32_e64 v3, 0x42800000, |v2|
	s_andn2_b32 s9, s9, exec_lo
	v_and_b32_e32 v3, 0xff, v3
	v_cmp_ne_u32_e32 vcc_lo, 0, v3
	s_and_b32 s11, vcc_lo, exec_lo
	s_or_b32 s9, s9, s11
	s_or_b32 exec_lo, exec_lo, s10
	v_mov_b32_e32 v6, 0
	s_and_saveexec_b32 s10, s9
	s_cbranch_execnz .LBB8_1015
	s_branch .LBB8_1016
.LBB8_1287:
	s_mov_b32 s6, -1
	s_mov_b32 s8, 0
.LBB8_1288:
                                        ; implicit-def: $vgpr44_vgpr45
.LBB8_1289:
	s_and_b32 vcc_lo, exec_lo, s9
	s_cbranch_vccz .LBB8_1293
; %bb.1290:
	s_cmp_eq_u32 s5, 44
	s_cbranch_scc0 .LBB8_1292
; %bb.1291:
	global_load_ubyte v3, v[5:6], off
	s_mov_b32 s6, 0
	s_mov_b32 s8, -1
	s_waitcnt vmcnt(0)
	v_lshlrev_b32_e32 v7, 23, v3
	v_cmp_ne_u32_e32 vcc_lo, 0xff, v3
	v_cvt_f64_f32_e32 v[7:8], v7
	v_cndmask_b32_e32 v7, 0x20000000, v7, vcc_lo
	v_cndmask_b32_e32 v8, 0x7ff80000, v8, vcc_lo
	v_cmp_ne_u32_e32 vcc_lo, 0, v3
	v_cndmask_b32_e32 v45, 0x38000000, v8, vcc_lo
	v_cndmask_b32_e32 v44, 0, v7, vcc_lo
	s_branch .LBB8_1293
.LBB8_1292:
	s_mov_b32 s6, -1
                                        ; implicit-def: $vgpr44_vgpr45
.LBB8_1293:
	s_mov_b32 s9, 0
.LBB8_1294:
	s_and_b32 vcc_lo, exec_lo, s9
	s_cbranch_vccz .LBB8_1298
; %bb.1295:
	s_cmp_eq_u32 s5, 29
	s_cbranch_scc0 .LBB8_1297
; %bb.1296:
	global_load_dwordx2 v[7:8], v[5:6], off
	s_mov_b32 s6, 0
	s_mov_b32 s8, -1
	s_mov_b32 s9, 0
	s_waitcnt vmcnt(0)
	v_cvt_f64_u32_e32 v[8:9], v8
	v_cvt_f64_u32_e32 v[10:11], v7
	v_ldexp_f64 v[8:9], v[8:9], 32
	v_add_f64 v[44:45], v[8:9], v[10:11]
	s_branch .LBB8_1299
.LBB8_1297:
	s_mov_b32 s6, -1
                                        ; implicit-def: $vgpr44_vgpr45
.LBB8_1298:
	s_mov_b32 s9, 0
.LBB8_1299:
	s_and_b32 vcc_lo, exec_lo, s9
	s_cbranch_vccz .LBB8_1319
; %bb.1300:
	s_cmp_lt_i32 s5, 27
	s_cbranch_scc1 .LBB8_1303
; %bb.1301:
	s_cmp_gt_i32 s5, 27
	s_cbranch_scc0 .LBB8_1304
; %bb.1302:
	global_load_dword v3, v[5:6], off
	s_mov_b32 s8, 0
	s_waitcnt vmcnt(0)
	v_cvt_f64_u32_e32 v[44:45], v3
	s_branch .LBB8_1305
.LBB8_1303:
	s_mov_b32 s8, -1
                                        ; implicit-def: $vgpr44_vgpr45
	s_branch .LBB8_1308
.LBB8_1304:
	s_mov_b32 s8, -1
                                        ; implicit-def: $vgpr44_vgpr45
.LBB8_1305:
	s_andn2_b32 vcc_lo, exec_lo, s8
	s_cbranch_vccnz .LBB8_1307
; %bb.1306:
	global_load_ushort v3, v[5:6], off
	s_waitcnt vmcnt(0)
	v_cvt_f64_u32_e32 v[44:45], v3
.LBB8_1307:
	s_mov_b32 s8, 0
.LBB8_1308:
	s_andn2_b32 vcc_lo, exec_lo, s8
	s_cbranch_vccnz .LBB8_1318
; %bb.1309:
	global_load_ubyte v3, v[5:6], off
	s_mov_b32 s8, 0
	s_mov_b32 s9, exec_lo
	s_waitcnt vmcnt(0)
	v_cmpx_lt_i16_e32 0x7f, v3
	s_xor_b32 s9, exec_lo, s9
	s_cbranch_execz .LBB8_1313
; %bb.1310:
	s_mov_b32 s8, -1
	s_mov_b32 s10, exec_lo
	v_cmpx_eq_u16_e32 0x80, v3
; %bb.1311:
	s_xor_b32 s8, exec_lo, -1
; %bb.1312:
	s_or_b32 exec_lo, exec_lo, s10
	s_and_b32 s8, s8, exec_lo
.LBB8_1313:
	s_or_saveexec_b32 s9, s9
	v_bfrev_b32_e32 v44, 4
	v_mov_b32_e32 v45, 0x7ff80000
	s_xor_b32 exec_lo, exec_lo, s9
; %bb.1314:
	v_cmp_ne_u16_e32 vcc_lo, 0, v3
	v_mov_b32_e32 v44, 0
	v_mov_b32_e32 v45, 0
	s_andn2_b32 s8, s8, exec_lo
	s_and_b32 s10, vcc_lo, exec_lo
	s_or_b32 s8, s8, s10
; %bb.1315:
	s_or_b32 exec_lo, exec_lo, s9
	s_and_saveexec_b32 s9, s8
	s_cbranch_execz .LBB8_1317
; %bb.1316:
	v_and_b32_e32 v7, 0xffff, v3
	v_lshlrev_b32_e32 v3, 24, v3
	v_and_b32_e32 v8, 7, v7
	v_bfe_u32 v11, v7, 3, 4
	v_and_b32_e32 v3, 0x80000000, v3
	v_ffbh_u32_e32 v9, v8
	v_cmp_eq_u32_e32 vcc_lo, 0, v11
	v_min_u32_e32 v9, 32, v9
	v_subrev_nc_u32_e32 v10, 28, v9
	v_sub_nc_u32_e32 v9, 29, v9
	v_lshlrev_b32_e32 v7, v10, v7
	v_cndmask_b32_e32 v9, v11, v9, vcc_lo
	v_and_b32_e32 v7, 7, v7
	v_cndmask_b32_e32 v7, v8, v7, vcc_lo
	v_lshl_add_u32 v8, v9, 23, 0x3b800000
	v_lshlrev_b32_e32 v7, 20, v7
	v_or3_b32 v3, v3, v8, v7
	v_cvt_f64_f32_e32 v[44:45], v3
.LBB8_1317:
	s_or_b32 exec_lo, exec_lo, s9
.LBB8_1318:
	s_mov_b32 s8, -1
.LBB8_1319:
	s_branch .LBB8_1350
.LBB8_1320:
	s_cmp_gt_i32 s5, 22
	s_cbranch_scc0 .LBB8_1332
; %bb.1321:
	s_cmp_lt_i32 s5, 24
	s_cbranch_scc1 .LBB8_1333
; %bb.1322:
	s_cmp_gt_i32 s5, 24
	s_cbranch_scc0 .LBB8_1334
; %bb.1323:
	global_load_ubyte v3, v[5:6], off
	s_mov_b32 s8, exec_lo
	s_waitcnt vmcnt(0)
	v_cmpx_lt_i16_e32 0x7f, v3
	s_xor_b32 s8, exec_lo, s8
	s_cbranch_execz .LBB8_1327
; %bb.1324:
	s_mov_b32 s7, -1
	s_mov_b32 s9, exec_lo
	v_cmpx_eq_u16_e32 0x80, v3
; %bb.1325:
	s_xor_b32 s7, exec_lo, -1
; %bb.1326:
	s_or_b32 exec_lo, exec_lo, s9
	s_and_b32 s7, s7, exec_lo
.LBB8_1327:
	s_or_saveexec_b32 s8, s8
	v_bfrev_b32_e32 v44, 4
	v_mov_b32_e32 v45, 0x7ff80000
	s_xor_b32 exec_lo, exec_lo, s8
; %bb.1328:
	v_cmp_ne_u16_e32 vcc_lo, 0, v3
	v_mov_b32_e32 v44, 0
	v_mov_b32_e32 v45, 0
	s_andn2_b32 s7, s7, exec_lo
	s_and_b32 s9, vcc_lo, exec_lo
	s_or_b32 s7, s7, s9
; %bb.1329:
	s_or_b32 exec_lo, exec_lo, s8
	s_and_saveexec_b32 s8, s7
	s_cbranch_execz .LBB8_1331
; %bb.1330:
	v_and_b32_e32 v7, 0xffff, v3
	v_lshlrev_b32_e32 v3, 24, v3
	v_and_b32_e32 v8, 3, v7
	v_bfe_u32 v11, v7, 2, 5
	v_and_b32_e32 v3, 0x80000000, v3
	v_ffbh_u32_e32 v9, v8
	v_cmp_eq_u32_e32 vcc_lo, 0, v11
	v_min_u32_e32 v9, 32, v9
	v_subrev_nc_u32_e32 v10, 29, v9
	v_sub_nc_u32_e32 v9, 30, v9
	v_lshlrev_b32_e32 v7, v10, v7
	v_cndmask_b32_e32 v9, v11, v9, vcc_lo
	v_and_b32_e32 v7, 3, v7
	v_cndmask_b32_e32 v7, v8, v7, vcc_lo
	v_lshl_add_u32 v8, v9, 23, 0x37800000
	v_lshlrev_b32_e32 v7, 21, v7
	v_or3_b32 v3, v3, v8, v7
	v_cvt_f64_f32_e32 v[44:45], v3
.LBB8_1331:
	s_or_b32 exec_lo, exec_lo, s8
	s_mov_b32 s7, 0
	s_branch .LBB8_1335
.LBB8_1332:
	s_mov_b32 s7, -1
                                        ; implicit-def: $vgpr44_vgpr45
	s_branch .LBB8_1341
.LBB8_1333:
	s_mov_b32 s7, -1
                                        ; implicit-def: $vgpr44_vgpr45
	s_branch .LBB8_1338
.LBB8_1334:
	s_mov_b32 s7, -1
                                        ; implicit-def: $vgpr44_vgpr45
.LBB8_1335:
	s_and_b32 vcc_lo, exec_lo, s7
	s_cbranch_vccz .LBB8_1337
; %bb.1336:
	global_load_ubyte v3, v[5:6], off
	s_waitcnt vmcnt(0)
	v_lshlrev_b32_e32 v3, 24, v3
	v_and_b32_e32 v7, 0x7f000000, v3
	v_ffbh_u32_e32 v8, v7
	v_add_nc_u32_e32 v10, 0x1000000, v7
	v_cmp_ne_u32_e32 vcc_lo, 0, v7
	v_min_u32_e32 v8, 32, v8
	v_sub_nc_u32_e64 v8, v8, 4 clamp
	v_lshlrev_b32_e32 v9, v8, v7
	v_lshlrev_b32_e32 v8, 23, v8
	v_lshrrev_b32_e32 v9, 4, v9
	v_sub_nc_u32_e32 v8, v9, v8
	v_ashrrev_i32_e32 v9, 8, v10
	v_add_nc_u32_e32 v8, 0x3c000000, v8
	v_and_or_b32 v8, 0x7f800000, v9, v8
	v_cndmask_b32_e32 v7, 0, v8, vcc_lo
	v_and_or_b32 v3, 0x80000000, v3, v7
	v_cvt_f64_f32_e32 v[44:45], v3
.LBB8_1337:
	s_mov_b32 s7, 0
.LBB8_1338:
	s_andn2_b32 vcc_lo, exec_lo, s7
	s_cbranch_vccnz .LBB8_1340
; %bb.1339:
	global_load_ubyte v3, v[5:6], off
	s_waitcnt vmcnt(0)
	v_lshlrev_b32_e32 v7, 25, v3
	v_lshlrev_b16 v3, 8, v3
	v_lshrrev_b32_e32 v8, 4, v7
	v_and_or_b32 v9, 0x7f00, v3, 0.5
	v_cmp_gt_u32_e32 vcc_lo, 0x8000000, v7
	v_bfe_i32 v3, v3, 0, 16
	v_or_b32_e32 v8, 0x70000000, v8
	v_add_f32_e32 v9, -0.5, v9
	v_mul_f32_e32 v8, 0x7800000, v8
	v_cndmask_b32_e32 v7, v8, v9, vcc_lo
	v_and_or_b32 v3, 0x80000000, v3, v7
	v_cvt_f64_f32_e32 v[44:45], v3
.LBB8_1340:
	s_mov_b32 s7, 0
	s_mov_b32 s8, -1
.LBB8_1341:
	s_andn2_b32 vcc_lo, exec_lo, s7
	s_mov_b32 s7, 0
	s_cbranch_vccnz .LBB8_1350
; %bb.1342:
	s_cmp_gt_i32 s5, 14
	s_cbranch_scc0 .LBB8_1345
; %bb.1343:
	s_cmp_eq_u32 s5, 15
	s_cbranch_scc0 .LBB8_1346
; %bb.1344:
	global_load_ushort v3, v[5:6], off
	s_mov_b32 s6, 0
	s_mov_b32 s8, -1
	s_waitcnt vmcnt(0)
	v_lshlrev_b32_e32 v3, 16, v3
	v_cvt_f64_f32_e32 v[44:45], v3
	s_branch .LBB8_1348
.LBB8_1345:
	s_mov_b32 s7, -1
	s_branch .LBB8_1347
.LBB8_1346:
	s_mov_b32 s6, -1
.LBB8_1347:
                                        ; implicit-def: $vgpr44_vgpr45
.LBB8_1348:
	s_and_b32 vcc_lo, exec_lo, s7
	s_mov_b32 s7, 0
	s_cbranch_vccz .LBB8_1350
; %bb.1349:
	s_cmp_lg_u32 s5, 11
	s_mov_b32 s7, -1
	s_cselect_b32 s6, -1, 0
.LBB8_1350:
	s_and_b32 vcc_lo, exec_lo, s6
	s_cbranch_vccnz .LBB8_1413
; %bb.1351:
	s_andn2_b32 vcc_lo, exec_lo, s7
	s_cbranch_vccnz .LBB8_1353
.LBB8_1352:
	global_load_ubyte v3, v[5:6], off
	v_mov_b32_e32 v44, 0
	s_mov_b32 s8, -1
	s_waitcnt vmcnt(0)
	v_cmp_ne_u16_e32 vcc_lo, 0, v3
	v_cndmask_b32_e64 v45, 0, 0x3ff00000, vcc_lo
.LBB8_1353:
	s_branch .LBB8_1279
.LBB8_1354:
	s_and_b32 s5, 0xffff, s4
	s_cmp_lt_i32 s5, 5
	s_cbranch_scc1 .LBB8_1359
; %bb.1355:
	s_cmp_lt_i32 s5, 8
	s_cbranch_scc1 .LBB8_1360
; %bb.1356:
	;; [unrolled: 3-line block ×3, first 2 shown]
	s_cmp_gt_i32 s5, 9
	s_cbranch_scc0 .LBB8_1362
; %bb.1358:
	global_load_dwordx2 v[44:45], v[5:6], off
	s_mov_b32 s6, 0
	s_branch .LBB8_1363
.LBB8_1359:
                                        ; implicit-def: $vgpr44_vgpr45
	s_branch .LBB8_1381
.LBB8_1360:
	s_mov_b32 s6, -1
                                        ; implicit-def: $vgpr44_vgpr45
	s_branch .LBB8_1369
.LBB8_1361:
	s_mov_b32 s6, -1
                                        ; implicit-def: $vgpr44_vgpr45
	s_branch .LBB8_1366
.LBB8_1362:
	s_mov_b32 s6, -1
                                        ; implicit-def: $vgpr44_vgpr45
.LBB8_1363:
	s_andn2_b32 vcc_lo, exec_lo, s6
	s_cbranch_vccnz .LBB8_1365
; %bb.1364:
	global_load_dword v3, v[5:6], off
	s_waitcnt vmcnt(0)
	v_cvt_f64_f32_e32 v[44:45], v3
.LBB8_1365:
	s_mov_b32 s6, 0
.LBB8_1366:
	s_andn2_b32 vcc_lo, exec_lo, s6
	s_cbranch_vccnz .LBB8_1368
; %bb.1367:
	global_load_dword v3, v[5:6], off
	s_waitcnt vmcnt(0)
	v_cvt_f32_f16_e32 v3, v3
	v_cvt_f64_f32_e32 v[44:45], v3
.LBB8_1368:
	s_mov_b32 s6, 0
.LBB8_1369:
	s_andn2_b32 vcc_lo, exec_lo, s6
	s_cbranch_vccnz .LBB8_1380
; %bb.1370:
	s_cmp_lt_i32 s5, 6
	s_cbranch_scc1 .LBB8_1373
; %bb.1371:
	s_cmp_gt_i32 s5, 6
	s_cbranch_scc0 .LBB8_1374
; %bb.1372:
	global_load_dwordx2 v[44:45], v[5:6], off
	s_mov_b32 s6, 0
	s_branch .LBB8_1375
.LBB8_1373:
	s_mov_b32 s6, -1
                                        ; implicit-def: $vgpr44_vgpr45
	s_branch .LBB8_1378
.LBB8_1374:
	s_mov_b32 s6, -1
                                        ; implicit-def: $vgpr44_vgpr45
.LBB8_1375:
	s_andn2_b32 vcc_lo, exec_lo, s6
	s_cbranch_vccnz .LBB8_1377
; %bb.1376:
	global_load_dword v3, v[5:6], off
	s_waitcnt vmcnt(0)
	v_cvt_f64_f32_e32 v[44:45], v3
.LBB8_1377:
	s_mov_b32 s6, 0
.LBB8_1378:
	s_andn2_b32 vcc_lo, exec_lo, s6
	s_cbranch_vccnz .LBB8_1380
; %bb.1379:
	global_load_ushort v3, v[5:6], off
	s_waitcnt vmcnt(0)
	v_cvt_f32_f16_e32 v3, v3
	v_cvt_f64_f32_e32 v[44:45], v3
.LBB8_1380:
	s_cbranch_execnz .LBB8_1400
.LBB8_1381:
	s_cmp_lt_i32 s5, 2
	s_cbranch_scc1 .LBB8_1385
; %bb.1382:
	s_cmp_lt_i32 s5, 3
	s_cbranch_scc1 .LBB8_1386
; %bb.1383:
	s_cmp_gt_i32 s5, 3
	s_cbranch_scc0 .LBB8_1387
; %bb.1384:
	global_load_dwordx2 v[7:8], v[5:6], off
	s_mov_b32 s6, 0
	s_waitcnt vmcnt(0)
	v_cvt_f64_i32_e32 v[8:9], v8
	v_cvt_f64_u32_e32 v[10:11], v7
	v_ldexp_f64 v[8:9], v[8:9], 32
	v_add_f64 v[44:45], v[8:9], v[10:11]
	s_branch .LBB8_1388
.LBB8_1385:
	s_mov_b32 s6, -1
                                        ; implicit-def: $vgpr44_vgpr45
	s_branch .LBB8_1394
.LBB8_1386:
	s_mov_b32 s6, -1
                                        ; implicit-def: $vgpr44_vgpr45
	s_branch .LBB8_1391
.LBB8_1387:
	s_mov_b32 s6, -1
                                        ; implicit-def: $vgpr44_vgpr45
.LBB8_1388:
	s_andn2_b32 vcc_lo, exec_lo, s6
	s_cbranch_vccnz .LBB8_1390
; %bb.1389:
	global_load_dword v3, v[5:6], off
	s_waitcnt vmcnt(0)
	v_cvt_f64_i32_e32 v[44:45], v3
.LBB8_1390:
	s_mov_b32 s6, 0
.LBB8_1391:
	s_andn2_b32 vcc_lo, exec_lo, s6
	s_cbranch_vccnz .LBB8_1393
; %bb.1392:
	global_load_sshort v3, v[5:6], off
	s_waitcnt vmcnt(0)
	v_cvt_f64_i32_e32 v[44:45], v3
.LBB8_1393:
	s_mov_b32 s6, 0
.LBB8_1394:
	s_andn2_b32 vcc_lo, exec_lo, s6
	s_cbranch_vccnz .LBB8_1400
; %bb.1395:
	s_cmp_gt_i32 s5, 0
	s_mov_b32 s5, 0
	s_cbranch_scc0 .LBB8_1397
; %bb.1396:
	global_load_sbyte v3, v[5:6], off
	s_waitcnt vmcnt(0)
	v_cvt_f64_i32_e32 v[44:45], v3
	s_branch .LBB8_1398
.LBB8_1397:
	s_mov_b32 s5, -1
                                        ; implicit-def: $vgpr44_vgpr45
.LBB8_1398:
	s_andn2_b32 vcc_lo, exec_lo, s5
	s_cbranch_vccnz .LBB8_1400
; %bb.1399:
	global_load_ubyte v3, v[5:6], off
	s_waitcnt vmcnt(0)
	v_cvt_f64_u32_e32 v[44:45], v3
.LBB8_1400:
.LBB8_1401:
	v_add_co_u32 v3, s5, s30, v4
	v_add_co_ci_u32_e64 v4, null, s31, 0, s5
	s_cmp_lt_i32 s4, 11
	s_cbranch_scc1 .LBB8_1408
; %bb.1402:
	s_and_b32 s5, 0xffff, s4
	s_mov_b32 s7, 0
	s_cmp_gt_i32 s5, 25
	s_cbranch_scc0 .LBB8_1410
; %bb.1403:
	s_cmp_gt_i32 s5, 28
	s_cbranch_scc0 .LBB8_1411
; %bb.1404:
	;; [unrolled: 3-line block ×4, first 2 shown]
	s_cmp_eq_u32 s5, 46
	s_mov_b32 s9, 0
	s_cbranch_scc0 .LBB8_1415
; %bb.1407:
	global_load_dword v5, v[3:4], off
	s_mov_b32 s6, 0
	s_mov_b32 s8, -1
	s_waitcnt vmcnt(0)
	v_lshlrev_b32_e32 v5, 16, v5
	v_cvt_f64_f32_e32 v[42:43], v5
	s_branch .LBB8_1417
.LBB8_1408:
	s_mov_b32 s8, 0
                                        ; implicit-def: $vgpr42_vgpr43
	s_cbranch_execnz .LBB8_1483
.LBB8_1409:
	s_andn2_b32 vcc_lo, exec_lo, s8
	s_cbranch_vccnz .LBB8_2095
	s_branch .LBB8_1531
.LBB8_1410:
	s_mov_b32 s9, -1
	s_mov_b32 s8, 0
	s_mov_b32 s6, 0
                                        ; implicit-def: $vgpr42_vgpr43
	s_branch .LBB8_1448
.LBB8_1411:
	s_mov_b32 s9, -1
	s_mov_b32 s8, 0
	s_mov_b32 s6, 0
                                        ; implicit-def: $vgpr42_vgpr43
	s_branch .LBB8_1427
.LBB8_1412:
	s_mov_b32 s9, -1
	s_mov_b32 s8, 0
	s_mov_b32 s6, 0
                                        ; implicit-def: $vgpr42_vgpr43
	s_branch .LBB8_1422
.LBB8_1413:
	s_or_b32 s26, s26, exec_lo
	s_trap 2
	s_cbranch_execz .LBB8_1352
	s_branch .LBB8_1353
.LBB8_1414:
	s_mov_b32 s9, -1
	s_mov_b32 s8, 0
	s_mov_b32 s6, 0
	s_branch .LBB8_1416
.LBB8_1415:
	s_mov_b32 s6, -1
	s_mov_b32 s8, 0
.LBB8_1416:
                                        ; implicit-def: $vgpr42_vgpr43
.LBB8_1417:
	s_and_b32 vcc_lo, exec_lo, s9
	s_cbranch_vccz .LBB8_1421
; %bb.1418:
	s_cmp_eq_u32 s5, 44
	s_cbranch_scc0 .LBB8_1420
; %bb.1419:
	global_load_ubyte v7, v[3:4], off
	s_mov_b32 s6, 0
	s_mov_b32 s8, -1
	s_waitcnt vmcnt(0)
	v_lshlrev_b32_e32 v5, 23, v7
	v_cmp_ne_u32_e32 vcc_lo, 0xff, v7
	v_cvt_f64_f32_e32 v[5:6], v5
	v_cndmask_b32_e32 v5, 0x20000000, v5, vcc_lo
	v_cndmask_b32_e32 v6, 0x7ff80000, v6, vcc_lo
	v_cmp_ne_u32_e32 vcc_lo, 0, v7
	v_cndmask_b32_e32 v43, 0x38000000, v6, vcc_lo
	v_cndmask_b32_e32 v42, 0, v5, vcc_lo
	s_branch .LBB8_1421
.LBB8_1420:
	s_mov_b32 s6, -1
                                        ; implicit-def: $vgpr42_vgpr43
.LBB8_1421:
	s_mov_b32 s9, 0
.LBB8_1422:
	s_and_b32 vcc_lo, exec_lo, s9
	s_cbranch_vccz .LBB8_1426
; %bb.1423:
	s_cmp_eq_u32 s5, 29
	s_cbranch_scc0 .LBB8_1425
; %bb.1424:
	global_load_dwordx2 v[5:6], v[3:4], off
	s_mov_b32 s6, 0
	s_mov_b32 s8, -1
	s_mov_b32 s9, 0
	s_waitcnt vmcnt(0)
	v_cvt_f64_u32_e32 v[6:7], v6
	v_cvt_f64_u32_e32 v[8:9], v5
	v_ldexp_f64 v[6:7], v[6:7], 32
	v_add_f64 v[42:43], v[6:7], v[8:9]
	s_branch .LBB8_1427
.LBB8_1425:
	s_mov_b32 s6, -1
                                        ; implicit-def: $vgpr42_vgpr43
.LBB8_1426:
	s_mov_b32 s9, 0
.LBB8_1427:
	s_and_b32 vcc_lo, exec_lo, s9
	s_cbranch_vccz .LBB8_1447
; %bb.1428:
	s_cmp_lt_i32 s5, 27
	s_cbranch_scc1 .LBB8_1431
; %bb.1429:
	s_cmp_gt_i32 s5, 27
	s_cbranch_scc0 .LBB8_1432
; %bb.1430:
	global_load_dword v5, v[3:4], off
	s_mov_b32 s8, 0
	s_waitcnt vmcnt(0)
	v_cvt_f64_u32_e32 v[42:43], v5
	s_branch .LBB8_1433
.LBB8_1431:
	s_mov_b32 s8, -1
                                        ; implicit-def: $vgpr42_vgpr43
	s_branch .LBB8_1436
.LBB8_1432:
	s_mov_b32 s8, -1
                                        ; implicit-def: $vgpr42_vgpr43
.LBB8_1433:
	s_andn2_b32 vcc_lo, exec_lo, s8
	s_cbranch_vccnz .LBB8_1435
; %bb.1434:
	global_load_ushort v5, v[3:4], off
	s_waitcnt vmcnt(0)
	v_cvt_f64_u32_e32 v[42:43], v5
.LBB8_1435:
	s_mov_b32 s8, 0
.LBB8_1436:
	s_andn2_b32 vcc_lo, exec_lo, s8
	s_cbranch_vccnz .LBB8_1446
; %bb.1437:
	global_load_ubyte v5, v[3:4], off
	s_mov_b32 s8, 0
	s_mov_b32 s9, exec_lo
	s_waitcnt vmcnt(0)
	v_cmpx_lt_i16_e32 0x7f, v5
	s_xor_b32 s9, exec_lo, s9
	s_cbranch_execz .LBB8_1441
; %bb.1438:
	s_mov_b32 s8, -1
	s_mov_b32 s10, exec_lo
	v_cmpx_eq_u16_e32 0x80, v5
; %bb.1439:
	s_xor_b32 s8, exec_lo, -1
; %bb.1440:
	s_or_b32 exec_lo, exec_lo, s10
	s_and_b32 s8, s8, exec_lo
.LBB8_1441:
	s_or_saveexec_b32 s9, s9
	v_bfrev_b32_e32 v42, 4
	v_mov_b32_e32 v43, 0x7ff80000
	s_xor_b32 exec_lo, exec_lo, s9
; %bb.1442:
	v_cmp_ne_u16_e32 vcc_lo, 0, v5
	v_mov_b32_e32 v42, 0
	v_mov_b32_e32 v43, 0
	s_andn2_b32 s8, s8, exec_lo
	s_and_b32 s10, vcc_lo, exec_lo
	s_or_b32 s8, s8, s10
; %bb.1443:
	s_or_b32 exec_lo, exec_lo, s9
	s_and_saveexec_b32 s9, s8
	s_cbranch_execz .LBB8_1445
; %bb.1444:
	v_and_b32_e32 v6, 0xffff, v5
	v_lshlrev_b32_e32 v5, 24, v5
	v_and_b32_e32 v7, 7, v6
	v_bfe_u32 v10, v6, 3, 4
	v_and_b32_e32 v5, 0x80000000, v5
	v_ffbh_u32_e32 v8, v7
	v_cmp_eq_u32_e32 vcc_lo, 0, v10
	v_min_u32_e32 v8, 32, v8
	v_subrev_nc_u32_e32 v9, 28, v8
	v_sub_nc_u32_e32 v8, 29, v8
	v_lshlrev_b32_e32 v6, v9, v6
	v_cndmask_b32_e32 v8, v10, v8, vcc_lo
	v_and_b32_e32 v6, 7, v6
	v_cndmask_b32_e32 v6, v7, v6, vcc_lo
	v_lshl_add_u32 v7, v8, 23, 0x3b800000
	v_lshlrev_b32_e32 v6, 20, v6
	v_or3_b32 v5, v5, v7, v6
	v_cvt_f64_f32_e32 v[42:43], v5
.LBB8_1445:
	s_or_b32 exec_lo, exec_lo, s9
.LBB8_1446:
	s_mov_b32 s8, -1
.LBB8_1447:
	s_mov_b32 s9, 0
.LBB8_1448:
	s_and_b32 vcc_lo, exec_lo, s9
	s_cbranch_vccz .LBB8_1479
; %bb.1449:
	s_cmp_gt_i32 s5, 22
	s_cbranch_scc0 .LBB8_1461
; %bb.1450:
	s_cmp_lt_i32 s5, 24
	s_cbranch_scc1 .LBB8_1462
; %bb.1451:
	s_cmp_gt_i32 s5, 24
	s_cbranch_scc0 .LBB8_1463
; %bb.1452:
	global_load_ubyte v5, v[3:4], off
	s_mov_b32 s8, exec_lo
	s_waitcnt vmcnt(0)
	v_cmpx_lt_i16_e32 0x7f, v5
	s_xor_b32 s8, exec_lo, s8
	s_cbranch_execz .LBB8_1456
; %bb.1453:
	s_mov_b32 s7, -1
	s_mov_b32 s9, exec_lo
	v_cmpx_eq_u16_e32 0x80, v5
; %bb.1454:
	s_xor_b32 s7, exec_lo, -1
; %bb.1455:
	s_or_b32 exec_lo, exec_lo, s9
	s_and_b32 s7, s7, exec_lo
.LBB8_1456:
	s_or_saveexec_b32 s8, s8
	v_bfrev_b32_e32 v42, 4
	v_mov_b32_e32 v43, 0x7ff80000
	s_xor_b32 exec_lo, exec_lo, s8
; %bb.1457:
	v_cmp_ne_u16_e32 vcc_lo, 0, v5
	v_mov_b32_e32 v42, 0
	v_mov_b32_e32 v43, 0
	s_andn2_b32 s7, s7, exec_lo
	s_and_b32 s9, vcc_lo, exec_lo
	s_or_b32 s7, s7, s9
; %bb.1458:
	s_or_b32 exec_lo, exec_lo, s8
	s_and_saveexec_b32 s8, s7
	s_cbranch_execz .LBB8_1460
; %bb.1459:
	v_and_b32_e32 v6, 0xffff, v5
	v_lshlrev_b32_e32 v5, 24, v5
	v_and_b32_e32 v7, 3, v6
	v_bfe_u32 v10, v6, 2, 5
	v_and_b32_e32 v5, 0x80000000, v5
	v_ffbh_u32_e32 v8, v7
	v_cmp_eq_u32_e32 vcc_lo, 0, v10
	v_min_u32_e32 v8, 32, v8
	v_subrev_nc_u32_e32 v9, 29, v8
	v_sub_nc_u32_e32 v8, 30, v8
	v_lshlrev_b32_e32 v6, v9, v6
	v_cndmask_b32_e32 v8, v10, v8, vcc_lo
	v_and_b32_e32 v6, 3, v6
	v_cndmask_b32_e32 v6, v7, v6, vcc_lo
	v_lshl_add_u32 v7, v8, 23, 0x37800000
	v_lshlrev_b32_e32 v6, 21, v6
	v_or3_b32 v5, v5, v7, v6
	v_cvt_f64_f32_e32 v[42:43], v5
.LBB8_1460:
	s_or_b32 exec_lo, exec_lo, s8
	s_mov_b32 s7, 0
	s_branch .LBB8_1464
.LBB8_1461:
	s_mov_b32 s7, -1
                                        ; implicit-def: $vgpr42_vgpr43
	s_branch .LBB8_1470
.LBB8_1462:
	s_mov_b32 s7, -1
                                        ; implicit-def: $vgpr42_vgpr43
	s_branch .LBB8_1467
.LBB8_1463:
	s_mov_b32 s7, -1
                                        ; implicit-def: $vgpr42_vgpr43
.LBB8_1464:
	s_and_b32 vcc_lo, exec_lo, s7
	s_cbranch_vccz .LBB8_1466
; %bb.1465:
	global_load_ubyte v5, v[3:4], off
	s_waitcnt vmcnt(0)
	v_lshlrev_b32_e32 v5, 24, v5
	v_and_b32_e32 v6, 0x7f000000, v5
	v_ffbh_u32_e32 v7, v6
	v_add_nc_u32_e32 v9, 0x1000000, v6
	v_cmp_ne_u32_e32 vcc_lo, 0, v6
	v_min_u32_e32 v7, 32, v7
	v_sub_nc_u32_e64 v7, v7, 4 clamp
	v_lshlrev_b32_e32 v8, v7, v6
	v_lshlrev_b32_e32 v7, 23, v7
	v_lshrrev_b32_e32 v8, 4, v8
	v_sub_nc_u32_e32 v7, v8, v7
	v_ashrrev_i32_e32 v8, 8, v9
	v_add_nc_u32_e32 v7, 0x3c000000, v7
	v_and_or_b32 v7, 0x7f800000, v8, v7
	v_cndmask_b32_e32 v6, 0, v7, vcc_lo
	v_and_or_b32 v5, 0x80000000, v5, v6
	v_cvt_f64_f32_e32 v[42:43], v5
.LBB8_1466:
	s_mov_b32 s7, 0
.LBB8_1467:
	s_andn2_b32 vcc_lo, exec_lo, s7
	s_cbranch_vccnz .LBB8_1469
; %bb.1468:
	global_load_ubyte v5, v[3:4], off
	s_waitcnt vmcnt(0)
	v_lshlrev_b32_e32 v6, 25, v5
	v_lshlrev_b16 v5, 8, v5
	v_lshrrev_b32_e32 v7, 4, v6
	v_and_or_b32 v8, 0x7f00, v5, 0.5
	v_cmp_gt_u32_e32 vcc_lo, 0x8000000, v6
	v_bfe_i32 v5, v5, 0, 16
	v_or_b32_e32 v7, 0x70000000, v7
	v_add_f32_e32 v8, -0.5, v8
	v_mul_f32_e32 v7, 0x7800000, v7
	v_cndmask_b32_e32 v6, v7, v8, vcc_lo
	v_and_or_b32 v5, 0x80000000, v5, v6
	v_cvt_f64_f32_e32 v[42:43], v5
.LBB8_1469:
	s_mov_b32 s7, 0
	s_mov_b32 s8, -1
.LBB8_1470:
	s_andn2_b32 vcc_lo, exec_lo, s7
	s_mov_b32 s7, 0
	s_cbranch_vccnz .LBB8_1479
; %bb.1471:
	s_cmp_gt_i32 s5, 14
	s_cbranch_scc0 .LBB8_1474
; %bb.1472:
	s_cmp_eq_u32 s5, 15
	s_cbranch_scc0 .LBB8_1475
; %bb.1473:
	global_load_ushort v5, v[3:4], off
	s_mov_b32 s6, 0
	s_mov_b32 s8, -1
	s_waitcnt vmcnt(0)
	v_lshlrev_b32_e32 v5, 16, v5
	v_cvt_f64_f32_e32 v[42:43], v5
	s_branch .LBB8_1477
.LBB8_1474:
	s_mov_b32 s7, -1
	s_branch .LBB8_1476
.LBB8_1475:
	s_mov_b32 s6, -1
.LBB8_1476:
                                        ; implicit-def: $vgpr42_vgpr43
.LBB8_1477:
	s_and_b32 vcc_lo, exec_lo, s7
	s_mov_b32 s7, 0
	s_cbranch_vccz .LBB8_1479
; %bb.1478:
	s_cmp_lg_u32 s5, 11
	s_mov_b32 s7, -1
	s_cselect_b32 s6, -1, 0
.LBB8_1479:
	s_and_b32 vcc_lo, exec_lo, s6
	s_cbranch_vccnz .LBB8_1542
; %bb.1480:
	s_andn2_b32 vcc_lo, exec_lo, s7
	s_cbranch_vccnz .LBB8_1482
.LBB8_1481:
	global_load_ubyte v5, v[3:4], off
	v_mov_b32_e32 v42, 0
	s_mov_b32 s8, -1
	s_waitcnt vmcnt(0)
	v_cmp_ne_u16_e32 vcc_lo, 0, v5
	v_cndmask_b32_e64 v43, 0, 0x3ff00000, vcc_lo
.LBB8_1482:
	s_branch .LBB8_1409
.LBB8_1483:
	s_and_b32 s5, 0xffff, s4
	s_cmp_lt_i32 s5, 5
	s_cbranch_scc1 .LBB8_1488
; %bb.1484:
	s_cmp_lt_i32 s5, 8
	s_cbranch_scc1 .LBB8_1489
; %bb.1485:
	;; [unrolled: 3-line block ×3, first 2 shown]
	s_cmp_gt_i32 s5, 9
	s_cbranch_scc0 .LBB8_1491
; %bb.1487:
	global_load_dwordx2 v[42:43], v[3:4], off
	s_mov_b32 s6, 0
	s_branch .LBB8_1492
.LBB8_1488:
	s_mov_b32 s6, -1
                                        ; implicit-def: $vgpr42_vgpr43
	s_branch .LBB8_1510
.LBB8_1489:
	s_mov_b32 s6, -1
                                        ; implicit-def: $vgpr42_vgpr43
	s_branch .LBB8_1498
.LBB8_1490:
	s_mov_b32 s6, -1
                                        ; implicit-def: $vgpr42_vgpr43
	s_branch .LBB8_1495
.LBB8_1491:
	s_mov_b32 s6, -1
                                        ; implicit-def: $vgpr42_vgpr43
.LBB8_1492:
	s_andn2_b32 vcc_lo, exec_lo, s6
	s_cbranch_vccnz .LBB8_1494
; %bb.1493:
	global_load_dword v5, v[3:4], off
	s_waitcnt vmcnt(0)
	v_cvt_f64_f32_e32 v[42:43], v5
.LBB8_1494:
	s_mov_b32 s6, 0
.LBB8_1495:
	s_andn2_b32 vcc_lo, exec_lo, s6
	s_cbranch_vccnz .LBB8_1497
; %bb.1496:
	global_load_dword v5, v[3:4], off
	s_waitcnt vmcnt(0)
	v_cvt_f32_f16_e32 v5, v5
	v_cvt_f64_f32_e32 v[42:43], v5
.LBB8_1497:
	s_mov_b32 s6, 0
.LBB8_1498:
	s_andn2_b32 vcc_lo, exec_lo, s6
	s_cbranch_vccnz .LBB8_1509
; %bb.1499:
	s_cmp_lt_i32 s5, 6
	s_cbranch_scc1 .LBB8_1502
; %bb.1500:
	s_cmp_gt_i32 s5, 6
	s_cbranch_scc0 .LBB8_1503
; %bb.1501:
	global_load_dwordx2 v[42:43], v[3:4], off
	s_mov_b32 s6, 0
	s_branch .LBB8_1504
.LBB8_1502:
	s_mov_b32 s6, -1
                                        ; implicit-def: $vgpr42_vgpr43
	s_branch .LBB8_1507
.LBB8_1503:
	s_mov_b32 s6, -1
                                        ; implicit-def: $vgpr42_vgpr43
.LBB8_1504:
	s_andn2_b32 vcc_lo, exec_lo, s6
	s_cbranch_vccnz .LBB8_1506
; %bb.1505:
	global_load_dword v5, v[3:4], off
	s_waitcnt vmcnt(0)
	v_cvt_f64_f32_e32 v[42:43], v5
.LBB8_1506:
	s_mov_b32 s6, 0
.LBB8_1507:
	s_andn2_b32 vcc_lo, exec_lo, s6
	s_cbranch_vccnz .LBB8_1509
; %bb.1508:
	global_load_ushort v5, v[3:4], off
	s_waitcnt vmcnt(0)
	v_cvt_f32_f16_e32 v5, v5
	v_cvt_f64_f32_e32 v[42:43], v5
.LBB8_1509:
	s_mov_b32 s6, 0
.LBB8_1510:
	s_andn2_b32 vcc_lo, exec_lo, s6
	s_cbranch_vccnz .LBB8_1530
; %bb.1511:
	s_cmp_lt_i32 s5, 2
	s_cbranch_scc1 .LBB8_1515
; %bb.1512:
	s_cmp_lt_i32 s5, 3
	s_cbranch_scc1 .LBB8_1516
; %bb.1513:
	s_cmp_gt_i32 s5, 3
	s_cbranch_scc0 .LBB8_1517
; %bb.1514:
	global_load_dwordx2 v[5:6], v[3:4], off
	s_mov_b32 s6, 0
	s_waitcnt vmcnt(0)
	v_cvt_f64_i32_e32 v[6:7], v6
	v_cvt_f64_u32_e32 v[8:9], v5
	v_ldexp_f64 v[6:7], v[6:7], 32
	v_add_f64 v[42:43], v[6:7], v[8:9]
	s_branch .LBB8_1518
.LBB8_1515:
	s_mov_b32 s6, -1
                                        ; implicit-def: $vgpr42_vgpr43
	s_branch .LBB8_1524
.LBB8_1516:
	s_mov_b32 s6, -1
                                        ; implicit-def: $vgpr42_vgpr43
	s_branch .LBB8_1521
.LBB8_1517:
	s_mov_b32 s6, -1
                                        ; implicit-def: $vgpr42_vgpr43
.LBB8_1518:
	s_andn2_b32 vcc_lo, exec_lo, s6
	s_cbranch_vccnz .LBB8_1520
; %bb.1519:
	global_load_dword v5, v[3:4], off
	s_waitcnt vmcnt(0)
	v_cvt_f64_i32_e32 v[42:43], v5
.LBB8_1520:
	s_mov_b32 s6, 0
.LBB8_1521:
	s_andn2_b32 vcc_lo, exec_lo, s6
	s_cbranch_vccnz .LBB8_1523
; %bb.1522:
	global_load_sshort v5, v[3:4], off
	s_waitcnt vmcnt(0)
	v_cvt_f64_i32_e32 v[42:43], v5
.LBB8_1523:
	s_mov_b32 s6, 0
.LBB8_1524:
	s_andn2_b32 vcc_lo, exec_lo, s6
	s_cbranch_vccnz .LBB8_1530
; %bb.1525:
	s_cmp_gt_i32 s5, 0
	s_mov_b32 s5, 0
	s_cbranch_scc0 .LBB8_1527
; %bb.1526:
	global_load_sbyte v5, v[3:4], off
	s_waitcnt vmcnt(0)
	v_cvt_f64_i32_e32 v[42:43], v5
	s_branch .LBB8_1528
.LBB8_1527:
	s_mov_b32 s5, -1
                                        ; implicit-def: $vgpr42_vgpr43
.LBB8_1528:
	s_andn2_b32 vcc_lo, exec_lo, s5
	s_cbranch_vccnz .LBB8_1530
; %bb.1529:
	global_load_ubyte v3, v[3:4], off
	s_waitcnt vmcnt(0)
	v_cvt_f64_u32_e32 v[42:43], v3
.LBB8_1530:
.LBB8_1531:
	v_add_co_u32 v2, s5, s30, v2
	v_add_co_ci_u32_e64 v3, null, s31, 0, s5
	s_cmp_lt_i32 s4, 11
	s_cbranch_scc1 .LBB8_1538
; %bb.1532:
	s_and_b32 s5, 0xffff, s4
	s_mov_b32 s7, 0
	s_cmp_gt_i32 s5, 25
	s_cbranch_scc0 .LBB8_1539
; %bb.1533:
	s_cmp_gt_i32 s5, 28
	s_cbranch_scc0 .LBB8_1540
; %bb.1534:
	;; [unrolled: 3-line block ×4, first 2 shown]
	s_cmp_eq_u32 s5, 46
	s_mov_b32 s9, 0
	s_cbranch_scc0 .LBB8_1544
; %bb.1537:
	global_load_dword v4, v[2:3], off
	s_mov_b32 s6, 0
	s_mov_b32 s8, -1
	s_waitcnt vmcnt(0)
	v_lshlrev_b32_e32 v4, 16, v4
	v_cvt_f64_f32_e32 v[40:41], v4
	s_branch .LBB8_1546
.LBB8_1538:
	s_mov_b32 s5, -1
	s_mov_b32 s8, 0
                                        ; implicit-def: $vgpr40_vgpr41
	s_branch .LBB8_1612
.LBB8_1539:
	s_mov_b32 s9, -1
	s_mov_b32 s8, 0
	s_mov_b32 s6, 0
                                        ; implicit-def: $vgpr40_vgpr41
	s_branch .LBB8_1577
.LBB8_1540:
	s_mov_b32 s9, -1
	s_mov_b32 s8, 0
	s_mov_b32 s6, 0
                                        ; implicit-def: $vgpr40_vgpr41
	s_branch .LBB8_1556
.LBB8_1541:
	s_mov_b32 s9, -1
	s_mov_b32 s8, 0
	s_mov_b32 s6, 0
                                        ; implicit-def: $vgpr40_vgpr41
	s_branch .LBB8_1551
.LBB8_1542:
	s_or_b32 s26, s26, exec_lo
	s_trap 2
	s_cbranch_execz .LBB8_1481
	s_branch .LBB8_1482
.LBB8_1543:
	s_mov_b32 s9, -1
	s_mov_b32 s8, 0
	s_mov_b32 s6, 0
	s_branch .LBB8_1545
.LBB8_1544:
	s_mov_b32 s6, -1
	s_mov_b32 s8, 0
.LBB8_1545:
                                        ; implicit-def: $vgpr40_vgpr41
.LBB8_1546:
	s_and_b32 vcc_lo, exec_lo, s9
	s_cbranch_vccz .LBB8_1550
; %bb.1547:
	s_cmp_eq_u32 s5, 44
	s_cbranch_scc0 .LBB8_1549
; %bb.1548:
	global_load_ubyte v6, v[2:3], off
	s_mov_b32 s6, 0
	s_mov_b32 s8, -1
	s_waitcnt vmcnt(0)
	v_lshlrev_b32_e32 v4, 23, v6
	v_cmp_ne_u32_e32 vcc_lo, 0xff, v6
	v_cvt_f64_f32_e32 v[4:5], v4
	v_cndmask_b32_e32 v4, 0x20000000, v4, vcc_lo
	v_cndmask_b32_e32 v5, 0x7ff80000, v5, vcc_lo
	v_cmp_ne_u32_e32 vcc_lo, 0, v6
	v_cndmask_b32_e32 v41, 0x38000000, v5, vcc_lo
	v_cndmask_b32_e32 v40, 0, v4, vcc_lo
	s_branch .LBB8_1550
.LBB8_1549:
	s_mov_b32 s6, -1
                                        ; implicit-def: $vgpr40_vgpr41
.LBB8_1550:
	s_mov_b32 s9, 0
.LBB8_1551:
	s_and_b32 vcc_lo, exec_lo, s9
	s_cbranch_vccz .LBB8_1555
; %bb.1552:
	s_cmp_eq_u32 s5, 29
	s_cbranch_scc0 .LBB8_1554
; %bb.1553:
	global_load_dwordx2 v[4:5], v[2:3], off
	s_mov_b32 s6, 0
	s_mov_b32 s8, -1
	s_mov_b32 s9, 0
	s_waitcnt vmcnt(0)
	v_cvt_f64_u32_e32 v[5:6], v5
	v_cvt_f64_u32_e32 v[7:8], v4
	v_ldexp_f64 v[5:6], v[5:6], 32
	v_add_f64 v[40:41], v[5:6], v[7:8]
	s_branch .LBB8_1556
.LBB8_1554:
	s_mov_b32 s6, -1
                                        ; implicit-def: $vgpr40_vgpr41
.LBB8_1555:
	s_mov_b32 s9, 0
.LBB8_1556:
	s_and_b32 vcc_lo, exec_lo, s9
	s_cbranch_vccz .LBB8_1576
; %bb.1557:
	s_cmp_lt_i32 s5, 27
	s_cbranch_scc1 .LBB8_1560
; %bb.1558:
	s_cmp_gt_i32 s5, 27
	s_cbranch_scc0 .LBB8_1561
; %bb.1559:
	global_load_dword v4, v[2:3], off
	s_mov_b32 s8, 0
	s_waitcnt vmcnt(0)
	v_cvt_f64_u32_e32 v[40:41], v4
	s_branch .LBB8_1562
.LBB8_1560:
	s_mov_b32 s8, -1
                                        ; implicit-def: $vgpr40_vgpr41
	s_branch .LBB8_1565
.LBB8_1561:
	s_mov_b32 s8, -1
                                        ; implicit-def: $vgpr40_vgpr41
.LBB8_1562:
	s_andn2_b32 vcc_lo, exec_lo, s8
	s_cbranch_vccnz .LBB8_1564
; %bb.1563:
	global_load_ushort v4, v[2:3], off
	s_waitcnt vmcnt(0)
	v_cvt_f64_u32_e32 v[40:41], v4
.LBB8_1564:
	s_mov_b32 s8, 0
.LBB8_1565:
	s_andn2_b32 vcc_lo, exec_lo, s8
	s_cbranch_vccnz .LBB8_1575
; %bb.1566:
	global_load_ubyte v4, v[2:3], off
	s_mov_b32 s8, 0
	s_mov_b32 s9, exec_lo
	s_waitcnt vmcnt(0)
	v_cmpx_lt_i16_e32 0x7f, v4
	s_xor_b32 s9, exec_lo, s9
	s_cbranch_execz .LBB8_1570
; %bb.1567:
	s_mov_b32 s8, -1
	s_mov_b32 s10, exec_lo
	v_cmpx_eq_u16_e32 0x80, v4
; %bb.1568:
	s_xor_b32 s8, exec_lo, -1
; %bb.1569:
	s_or_b32 exec_lo, exec_lo, s10
	s_and_b32 s8, s8, exec_lo
.LBB8_1570:
	s_or_saveexec_b32 s9, s9
	v_bfrev_b32_e32 v40, 4
	v_mov_b32_e32 v41, 0x7ff80000
	s_xor_b32 exec_lo, exec_lo, s9
; %bb.1571:
	v_cmp_ne_u16_e32 vcc_lo, 0, v4
	v_mov_b32_e32 v40, 0
	v_mov_b32_e32 v41, 0
	s_andn2_b32 s8, s8, exec_lo
	s_and_b32 s10, vcc_lo, exec_lo
	s_or_b32 s8, s8, s10
; %bb.1572:
	s_or_b32 exec_lo, exec_lo, s9
	s_and_saveexec_b32 s9, s8
	s_cbranch_execz .LBB8_1574
; %bb.1573:
	v_and_b32_e32 v5, 0xffff, v4
	v_lshlrev_b32_e32 v4, 24, v4
	v_and_b32_e32 v6, 7, v5
	v_bfe_u32 v9, v5, 3, 4
	v_and_b32_e32 v4, 0x80000000, v4
	v_ffbh_u32_e32 v7, v6
	v_cmp_eq_u32_e32 vcc_lo, 0, v9
	v_min_u32_e32 v7, 32, v7
	v_subrev_nc_u32_e32 v8, 28, v7
	v_sub_nc_u32_e32 v7, 29, v7
	v_lshlrev_b32_e32 v5, v8, v5
	v_cndmask_b32_e32 v7, v9, v7, vcc_lo
	v_and_b32_e32 v5, 7, v5
	v_cndmask_b32_e32 v5, v6, v5, vcc_lo
	v_lshl_add_u32 v6, v7, 23, 0x3b800000
	v_lshlrev_b32_e32 v5, 20, v5
	v_or3_b32 v4, v4, v6, v5
	v_cvt_f64_f32_e32 v[40:41], v4
.LBB8_1574:
	s_or_b32 exec_lo, exec_lo, s9
.LBB8_1575:
	s_mov_b32 s8, -1
.LBB8_1576:
	s_mov_b32 s9, 0
.LBB8_1577:
	s_and_b32 vcc_lo, exec_lo, s9
	s_cbranch_vccz .LBB8_1608
; %bb.1578:
	s_cmp_gt_i32 s5, 22
	s_cbranch_scc0 .LBB8_1590
; %bb.1579:
	s_cmp_lt_i32 s5, 24
	s_cbranch_scc1 .LBB8_1591
; %bb.1580:
	s_cmp_gt_i32 s5, 24
	s_cbranch_scc0 .LBB8_1592
; %bb.1581:
	global_load_ubyte v4, v[2:3], off
	s_mov_b32 s8, exec_lo
	s_waitcnt vmcnt(0)
	v_cmpx_lt_i16_e32 0x7f, v4
	s_xor_b32 s8, exec_lo, s8
	s_cbranch_execz .LBB8_1585
; %bb.1582:
	s_mov_b32 s7, -1
	s_mov_b32 s9, exec_lo
	v_cmpx_eq_u16_e32 0x80, v4
; %bb.1583:
	s_xor_b32 s7, exec_lo, -1
; %bb.1584:
	s_or_b32 exec_lo, exec_lo, s9
	s_and_b32 s7, s7, exec_lo
.LBB8_1585:
	s_or_saveexec_b32 s8, s8
	v_bfrev_b32_e32 v40, 4
	v_mov_b32_e32 v41, 0x7ff80000
	s_xor_b32 exec_lo, exec_lo, s8
; %bb.1586:
	v_cmp_ne_u16_e32 vcc_lo, 0, v4
	v_mov_b32_e32 v40, 0
	v_mov_b32_e32 v41, 0
	s_andn2_b32 s7, s7, exec_lo
	s_and_b32 s9, vcc_lo, exec_lo
	s_or_b32 s7, s7, s9
; %bb.1587:
	s_or_b32 exec_lo, exec_lo, s8
	s_and_saveexec_b32 s8, s7
	s_cbranch_execz .LBB8_1589
; %bb.1588:
	v_and_b32_e32 v5, 0xffff, v4
	v_lshlrev_b32_e32 v4, 24, v4
	v_and_b32_e32 v6, 3, v5
	v_bfe_u32 v9, v5, 2, 5
	v_and_b32_e32 v4, 0x80000000, v4
	v_ffbh_u32_e32 v7, v6
	v_cmp_eq_u32_e32 vcc_lo, 0, v9
	v_min_u32_e32 v7, 32, v7
	v_subrev_nc_u32_e32 v8, 29, v7
	v_sub_nc_u32_e32 v7, 30, v7
	v_lshlrev_b32_e32 v5, v8, v5
	v_cndmask_b32_e32 v7, v9, v7, vcc_lo
	v_and_b32_e32 v5, 3, v5
	v_cndmask_b32_e32 v5, v6, v5, vcc_lo
	v_lshl_add_u32 v6, v7, 23, 0x37800000
	v_lshlrev_b32_e32 v5, 21, v5
	v_or3_b32 v4, v4, v6, v5
	v_cvt_f64_f32_e32 v[40:41], v4
.LBB8_1589:
	s_or_b32 exec_lo, exec_lo, s8
	s_mov_b32 s7, 0
	s_branch .LBB8_1593
.LBB8_1590:
	s_mov_b32 s7, -1
                                        ; implicit-def: $vgpr40_vgpr41
	s_branch .LBB8_1599
.LBB8_1591:
	s_mov_b32 s7, -1
                                        ; implicit-def: $vgpr40_vgpr41
	s_branch .LBB8_1596
.LBB8_1592:
	s_mov_b32 s7, -1
                                        ; implicit-def: $vgpr40_vgpr41
.LBB8_1593:
	s_and_b32 vcc_lo, exec_lo, s7
	s_cbranch_vccz .LBB8_1595
; %bb.1594:
	global_load_ubyte v4, v[2:3], off
	s_waitcnt vmcnt(0)
	v_lshlrev_b32_e32 v4, 24, v4
	v_and_b32_e32 v5, 0x7f000000, v4
	v_ffbh_u32_e32 v6, v5
	v_add_nc_u32_e32 v8, 0x1000000, v5
	v_cmp_ne_u32_e32 vcc_lo, 0, v5
	v_min_u32_e32 v6, 32, v6
	v_sub_nc_u32_e64 v6, v6, 4 clamp
	v_lshlrev_b32_e32 v7, v6, v5
	v_lshlrev_b32_e32 v6, 23, v6
	v_lshrrev_b32_e32 v7, 4, v7
	v_sub_nc_u32_e32 v6, v7, v6
	v_ashrrev_i32_e32 v7, 8, v8
	v_add_nc_u32_e32 v6, 0x3c000000, v6
	v_and_or_b32 v6, 0x7f800000, v7, v6
	v_cndmask_b32_e32 v5, 0, v6, vcc_lo
	v_and_or_b32 v4, 0x80000000, v4, v5
	v_cvt_f64_f32_e32 v[40:41], v4
.LBB8_1595:
	s_mov_b32 s7, 0
.LBB8_1596:
	s_andn2_b32 vcc_lo, exec_lo, s7
	s_cbranch_vccnz .LBB8_1598
; %bb.1597:
	global_load_ubyte v4, v[2:3], off
	s_waitcnt vmcnt(0)
	v_lshlrev_b32_e32 v5, 25, v4
	v_lshlrev_b16 v4, 8, v4
	v_lshrrev_b32_e32 v6, 4, v5
	v_and_or_b32 v7, 0x7f00, v4, 0.5
	v_cmp_gt_u32_e32 vcc_lo, 0x8000000, v5
	v_bfe_i32 v4, v4, 0, 16
	v_or_b32_e32 v6, 0x70000000, v6
	v_add_f32_e32 v7, -0.5, v7
	v_mul_f32_e32 v6, 0x7800000, v6
	v_cndmask_b32_e32 v5, v6, v7, vcc_lo
	v_and_or_b32 v4, 0x80000000, v4, v5
	v_cvt_f64_f32_e32 v[40:41], v4
.LBB8_1598:
	s_mov_b32 s7, 0
	s_mov_b32 s8, -1
.LBB8_1599:
	s_andn2_b32 vcc_lo, exec_lo, s7
	s_mov_b32 s7, 0
	s_cbranch_vccnz .LBB8_1608
; %bb.1600:
	s_cmp_gt_i32 s5, 14
	s_cbranch_scc0 .LBB8_1603
; %bb.1601:
	s_cmp_eq_u32 s5, 15
	s_cbranch_scc0 .LBB8_1604
; %bb.1602:
	global_load_ushort v4, v[2:3], off
	s_mov_b32 s6, 0
	s_mov_b32 s8, -1
	s_waitcnt vmcnt(0)
	v_lshlrev_b32_e32 v4, 16, v4
	v_cvt_f64_f32_e32 v[40:41], v4
	s_branch .LBB8_1606
.LBB8_1603:
	s_mov_b32 s7, -1
	s_branch .LBB8_1605
.LBB8_1604:
	s_mov_b32 s6, -1
.LBB8_1605:
                                        ; implicit-def: $vgpr40_vgpr41
.LBB8_1606:
	s_and_b32 vcc_lo, exec_lo, s7
	s_mov_b32 s7, 0
	s_cbranch_vccz .LBB8_1608
; %bb.1607:
	s_cmp_lg_u32 s5, 11
	s_mov_b32 s7, -1
	s_cselect_b32 s6, -1, 0
.LBB8_1608:
	s_and_b32 vcc_lo, exec_lo, s6
	s_cbranch_vccnz .LBB8_2141
; %bb.1609:
	s_andn2_b32 vcc_lo, exec_lo, s7
	s_cbranch_vccnz .LBB8_1611
.LBB8_1610:
	global_load_ubyte v4, v[2:3], off
	v_mov_b32_e32 v40, 0
	s_mov_b32 s8, -1
	s_waitcnt vmcnt(0)
	v_cmp_ne_u16_e32 vcc_lo, 0, v4
	v_cndmask_b32_e64 v41, 0, 0x3ff00000, vcc_lo
.LBB8_1611:
	s_mov_b32 s5, 0
.LBB8_1612:
	s_and_b32 vcc_lo, exec_lo, s5
	s_cbranch_vccz .LBB8_1661
; %bb.1613:
	s_and_b32 s4, 0xffff, s4
	s_cmp_lt_i32 s4, 5
	s_cbranch_scc1 .LBB8_1618
; %bb.1614:
	s_cmp_lt_i32 s4, 8
	s_cbranch_scc1 .LBB8_1619
; %bb.1615:
	;; [unrolled: 3-line block ×3, first 2 shown]
	s_cmp_gt_i32 s4, 9
	s_cbranch_scc0 .LBB8_1621
; %bb.1617:
	global_load_dwordx2 v[40:41], v[2:3], off
	s_mov_b32 s5, 0
	s_branch .LBB8_1622
.LBB8_1618:
	s_mov_b32 s5, -1
                                        ; implicit-def: $vgpr40_vgpr41
	s_branch .LBB8_1640
.LBB8_1619:
	s_mov_b32 s5, -1
                                        ; implicit-def: $vgpr40_vgpr41
	s_branch .LBB8_1628
.LBB8_1620:
	s_mov_b32 s5, -1
                                        ; implicit-def: $vgpr40_vgpr41
	s_branch .LBB8_1625
.LBB8_1621:
	s_mov_b32 s5, -1
                                        ; implicit-def: $vgpr40_vgpr41
.LBB8_1622:
	s_andn2_b32 vcc_lo, exec_lo, s5
	s_cbranch_vccnz .LBB8_1624
; %bb.1623:
	global_load_dword v4, v[2:3], off
	s_waitcnt vmcnt(0)
	v_cvt_f64_f32_e32 v[40:41], v4
.LBB8_1624:
	s_mov_b32 s5, 0
.LBB8_1625:
	s_andn2_b32 vcc_lo, exec_lo, s5
	s_cbranch_vccnz .LBB8_1627
; %bb.1626:
	global_load_dword v4, v[2:3], off
	s_waitcnt vmcnt(0)
	v_cvt_f32_f16_e32 v4, v4
	v_cvt_f64_f32_e32 v[40:41], v4
.LBB8_1627:
	s_mov_b32 s5, 0
.LBB8_1628:
	s_andn2_b32 vcc_lo, exec_lo, s5
	s_cbranch_vccnz .LBB8_1639
; %bb.1629:
	s_cmp_lt_i32 s4, 6
	s_cbranch_scc1 .LBB8_1632
; %bb.1630:
	s_cmp_gt_i32 s4, 6
	s_cbranch_scc0 .LBB8_1633
; %bb.1631:
	global_load_dwordx2 v[40:41], v[2:3], off
	s_mov_b32 s5, 0
	s_branch .LBB8_1634
.LBB8_1632:
	s_mov_b32 s5, -1
                                        ; implicit-def: $vgpr40_vgpr41
	s_branch .LBB8_1637
.LBB8_1633:
	s_mov_b32 s5, -1
                                        ; implicit-def: $vgpr40_vgpr41
.LBB8_1634:
	s_andn2_b32 vcc_lo, exec_lo, s5
	s_cbranch_vccnz .LBB8_1636
; %bb.1635:
	global_load_dword v4, v[2:3], off
	s_waitcnt vmcnt(0)
	v_cvt_f64_f32_e32 v[40:41], v4
.LBB8_1636:
	s_mov_b32 s5, 0
.LBB8_1637:
	s_andn2_b32 vcc_lo, exec_lo, s5
	s_cbranch_vccnz .LBB8_1639
; %bb.1638:
	global_load_ushort v4, v[2:3], off
	s_waitcnt vmcnt(0)
	v_cvt_f32_f16_e32 v4, v4
	v_cvt_f64_f32_e32 v[40:41], v4
.LBB8_1639:
	s_mov_b32 s5, 0
.LBB8_1640:
	s_andn2_b32 vcc_lo, exec_lo, s5
	s_cbranch_vccnz .LBB8_1660
; %bb.1641:
	s_cmp_lt_i32 s4, 2
	s_cbranch_scc1 .LBB8_1645
; %bb.1642:
	s_cmp_lt_i32 s4, 3
	s_cbranch_scc1 .LBB8_1646
; %bb.1643:
	s_cmp_gt_i32 s4, 3
	s_cbranch_scc0 .LBB8_1647
; %bb.1644:
	global_load_dwordx2 v[4:5], v[2:3], off
	s_mov_b32 s5, 0
	s_waitcnt vmcnt(0)
	v_cvt_f64_i32_e32 v[5:6], v5
	v_cvt_f64_u32_e32 v[7:8], v4
	v_ldexp_f64 v[5:6], v[5:6], 32
	v_add_f64 v[40:41], v[5:6], v[7:8]
	s_branch .LBB8_1648
.LBB8_1645:
	s_mov_b32 s5, -1
                                        ; implicit-def: $vgpr40_vgpr41
	s_branch .LBB8_1654
.LBB8_1646:
	s_mov_b32 s5, -1
                                        ; implicit-def: $vgpr40_vgpr41
	s_branch .LBB8_1651
.LBB8_1647:
	s_mov_b32 s5, -1
                                        ; implicit-def: $vgpr40_vgpr41
.LBB8_1648:
	s_andn2_b32 vcc_lo, exec_lo, s5
	s_cbranch_vccnz .LBB8_1650
; %bb.1649:
	global_load_dword v4, v[2:3], off
	s_waitcnt vmcnt(0)
	v_cvt_f64_i32_e32 v[40:41], v4
.LBB8_1650:
	s_mov_b32 s5, 0
.LBB8_1651:
	s_andn2_b32 vcc_lo, exec_lo, s5
	s_cbranch_vccnz .LBB8_1653
; %bb.1652:
	global_load_sshort v4, v[2:3], off
	s_waitcnt vmcnt(0)
	v_cvt_f64_i32_e32 v[40:41], v4
.LBB8_1653:
	s_mov_b32 s5, 0
.LBB8_1654:
	s_andn2_b32 vcc_lo, exec_lo, s5
	s_cbranch_vccnz .LBB8_1660
; %bb.1655:
	s_cmp_gt_i32 s4, 0
	s_mov_b32 s4, 0
	s_cbranch_scc0 .LBB8_1657
; %bb.1656:
	global_load_sbyte v4, v[2:3], off
	s_waitcnt vmcnt(0)
	v_cvt_f64_i32_e32 v[40:41], v4
	s_branch .LBB8_1658
.LBB8_1657:
	s_mov_b32 s4, -1
                                        ; implicit-def: $vgpr40_vgpr41
.LBB8_1658:
	s_andn2_b32 vcc_lo, exec_lo, s4
	s_cbranch_vccnz .LBB8_1660
; %bb.1659:
	global_load_ubyte v2, v[2:3], off
	s_waitcnt vmcnt(0)
	v_cvt_f64_u32_e32 v[40:41], v2
.LBB8_1660:
	s_mov_b32 s8, -1
.LBB8_1661:
	s_andn2_b32 vcc_lo, exec_lo, s8
	s_cbranch_vccnz .LBB8_2095
; %bb.1662:
	s_bfe_u32 s33, s27, 0x80008
	s_getpc_b64 s[4:5]
	s_add_u32 s4, s4, _ZZZZN2at6native12_GLOBAL__N_121bessel_j1_kernel_cudaERNS_18TensorIteratorBaseEENKUlvE_clEvENKUlvE_clEvENKUldE_clEd@rel32@lo+4
	s_addc_u32 s5, s5, _ZZZZN2at6native12_GLOBAL__N_121bessel_j1_kernel_cudaERNS_18TensorIteratorBaseEENKUlvE_clEvENKUlvE_clEvENKUldE_clEd@rel32@hi+12
	s_swappc_b64 s[30:31], s[4:5]
	v_add_co_u32 v4, s4, s28, v60
	v_add_co_ci_u32_e64 v5, null, s29, 0, s4
	s_cmp_lt_i32 s33, 11
	s_cbranch_scc1 .LBB8_1740
; %bb.1663:
	s_and_b32 s5, 0xffff, s33
	s_mov_b32 s8, -1
	s_mov_b32 s6, 0
	s_cmp_gt_i32 s5, 25
	s_mov_b32 s7, 0
	s_mov_b32 s4, 0
	s_cbranch_scc0 .LBB8_1696
; %bb.1664:
	s_cmp_gt_i32 s5, 28
	s_cbranch_scc0 .LBB8_1679
; %bb.1665:
	s_cmp_gt_i32 s5, 43
	;; [unrolled: 3-line block ×3, first 2 shown]
	s_cbranch_scc0 .LBB8_1669
; %bb.1667:
	s_mov_b32 s4, -1
	s_mov_b32 s8, 0
	s_cmp_eq_u32 s5, 46
	s_cbranch_scc0 .LBB8_1669
; %bb.1668:
	v_cvt_f32_f64_e32 v2, v[0:1]
	s_mov_b32 s4, 0
	s_mov_b32 s7, -1
	v_bfe_u32 v3, v2, 16, 1
	v_cmp_o_f32_e32 vcc_lo, v2, v2
	v_add3_u32 v2, v2, v3, 0x7fff
	v_mov_b32_e32 v3, 0x7fc0
	v_cndmask_b32_sdwa v2, v3, v2, vcc_lo dst_sel:DWORD dst_unused:UNUSED_PAD src0_sel:DWORD src1_sel:WORD_1
	global_store_dword v[4:5], v2, off
.LBB8_1669:
	s_and_b32 vcc_lo, exec_lo, s8
	s_cbranch_vccz .LBB8_1674
; %bb.1670:
	s_cmp_eq_u32 s5, 44
	s_mov_b32 s4, -1
	s_cbranch_scc0 .LBB8_1674
; %bb.1671:
	v_cvt_f32_f64_e32 v2, v[0:1]
	v_mov_b32_e32 v3, 0xff
	s_mov_b32 s7, exec_lo
	v_bfe_u32 v6, v2, 23, 8
	v_cmpx_ne_u32_e32 0xff, v6
	s_cbranch_execz .LBB8_1673
; %bb.1672:
	v_and_b32_e32 v3, 0x400000, v2
	v_and_or_b32 v6, 0x3fffff, v2, v6
	v_lshrrev_b32_e32 v2, 23, v2
	v_cmp_ne_u32_e32 vcc_lo, 0, v3
	v_cmp_ne_u32_e64 s4, 0, v6
	s_and_b32 s4, vcc_lo, s4
	v_cndmask_b32_e64 v3, 0, 1, s4
	v_add_nc_u32_e32 v3, v2, v3
.LBB8_1673:
	s_or_b32 exec_lo, exec_lo, s7
	s_mov_b32 s4, 0
	s_mov_b32 s7, -1
	global_store_byte v[4:5], v3, off
.LBB8_1674:
	s_mov_b32 s8, 0
.LBB8_1675:
	s_and_b32 vcc_lo, exec_lo, s8
	s_cbranch_vccz .LBB8_1678
; %bb.1676:
	s_cmp_eq_u32 s5, 29
	s_mov_b32 s4, -1
	s_cbranch_scc0 .LBB8_1678
; %bb.1677:
	v_trunc_f64_e32 v[2:3], v[0:1]
	s_mov_b32 s4, 0
	s_mov_b32 s7, -1
	v_ldexp_f64 v[6:7], v[2:3], 0xffffffe0
	v_floor_f64_e32 v[6:7], v[6:7]
	v_fma_f64 v[2:3], 0xc1f00000, v[6:7], v[2:3]
	v_cvt_u32_f64_e32 v7, v[6:7]
	v_cvt_u32_f64_e32 v6, v[2:3]
	global_store_dwordx2 v[4:5], v[6:7], off
.LBB8_1678:
	s_mov_b32 s8, 0
.LBB8_1679:
	s_and_b32 vcc_lo, exec_lo, s8
	s_cbranch_vccz .LBB8_1695
; %bb.1680:
	s_cmp_lt_i32 s5, 27
	s_mov_b32 s7, -1
	s_cbranch_scc1 .LBB8_1686
; %bb.1681:
	v_cvt_u32_f64_e32 v2, v[0:1]
	s_cmp_gt_i32 s5, 27
	s_cbranch_scc0 .LBB8_1683
; %bb.1682:
	s_mov_b32 s7, 0
	global_store_dword v[4:5], v2, off
.LBB8_1683:
	s_andn2_b32 vcc_lo, exec_lo, s7
	s_cbranch_vccnz .LBB8_1685
; %bb.1684:
	global_store_short v[4:5], v2, off
.LBB8_1685:
	s_mov_b32 s7, 0
.LBB8_1686:
	s_andn2_b32 vcc_lo, exec_lo, s7
	s_cbranch_vccnz .LBB8_1694
; %bb.1687:
	v_cvt_f32_f64_e32 v2, v[0:1]
	v_mov_b32_e32 v6, 0x80
	s_mov_b32 s7, exec_lo
	v_and_b32_e32 v3, 0x7fffffff, v2
	v_cmpx_gt_u32_e32 0x43800000, v3
	s_cbranch_execz .LBB8_1693
; %bb.1688:
	v_cmp_lt_u32_e32 vcc_lo, 0x3bffffff, v3
	s_mov_b32 s8, 0
                                        ; implicit-def: $vgpr3
	s_and_saveexec_b32 s9, vcc_lo
	s_xor_b32 s9, exec_lo, s9
	s_cbranch_execz .LBB8_2142
; %bb.1689:
	v_bfe_u32 v3, v2, 20, 1
	s_mov_b32 s8, exec_lo
	v_add3_u32 v3, v2, v3, 0x487ffff
	v_lshrrev_b32_e32 v3, 20, v3
	s_andn2_saveexec_b32 s9, s9
	s_cbranch_execnz .LBB8_2143
.LBB8_1690:
	s_or_b32 exec_lo, exec_lo, s9
	v_mov_b32_e32 v6, 0
	s_and_saveexec_b32 s9, s8
.LBB8_1691:
	v_lshrrev_b32_e32 v2, 24, v2
	v_and_or_b32 v6, 0x80, v2, v3
.LBB8_1692:
	s_or_b32 exec_lo, exec_lo, s9
.LBB8_1693:
	s_or_b32 exec_lo, exec_lo, s7
	global_store_byte v[4:5], v6, off
.LBB8_1694:
	s_mov_b32 s7, -1
.LBB8_1695:
	s_mov_b32 s8, 0
.LBB8_1696:
	s_and_b32 vcc_lo, exec_lo, s8
	s_cbranch_vccz .LBB8_1736
; %bb.1697:
	s_cmp_gt_i32 s5, 22
	s_mov_b32 s6, -1
	s_cbranch_scc0 .LBB8_1729
; %bb.1698:
	s_cmp_lt_i32 s5, 24
	s_cbranch_scc1 .LBB8_1718
; %bb.1699:
	s_cmp_gt_i32 s5, 24
	s_cbranch_scc0 .LBB8_1707
; %bb.1700:
	v_cvt_f32_f64_e32 v2, v[0:1]
	v_mov_b32_e32 v6, 0x80
	s_mov_b32 s6, exec_lo
	v_and_b32_e32 v3, 0x7fffffff, v2
	v_cmpx_gt_u32_e32 0x47800000, v3
	s_cbranch_execz .LBB8_1706
; %bb.1701:
	v_cmp_lt_u32_e32 vcc_lo, 0x37ffffff, v3
	s_mov_b32 s7, 0
                                        ; implicit-def: $vgpr3
	s_and_saveexec_b32 s8, vcc_lo
	s_xor_b32 s8, exec_lo, s8
	s_cbranch_execz .LBB8_2145
; %bb.1702:
	v_bfe_u32 v3, v2, 21, 1
	s_mov_b32 s7, exec_lo
	v_add3_u32 v3, v2, v3, 0x88fffff
	v_lshrrev_b32_e32 v3, 21, v3
	s_andn2_saveexec_b32 s8, s8
	s_cbranch_execnz .LBB8_2146
.LBB8_1703:
	s_or_b32 exec_lo, exec_lo, s8
	v_mov_b32_e32 v6, 0
	s_and_saveexec_b32 s8, s7
.LBB8_1704:
	v_lshrrev_b32_e32 v2, 24, v2
	v_and_or_b32 v6, 0x80, v2, v3
.LBB8_1705:
	s_or_b32 exec_lo, exec_lo, s8
.LBB8_1706:
	s_or_b32 exec_lo, exec_lo, s6
	s_mov_b32 s6, 0
	global_store_byte v[4:5], v6, off
.LBB8_1707:
	s_and_b32 vcc_lo, exec_lo, s6
	s_cbranch_vccz .LBB8_1717
; %bb.1708:
	v_cvt_f32_f64_e32 v2, v[0:1]
	s_mov_b32 s6, exec_lo
                                        ; implicit-def: $vgpr3
	v_and_b32_e32 v6, 0x7fffffff, v2
	v_cmpx_gt_u32_e32 0x43f00000, v6
	s_xor_b32 s6, exec_lo, s6
	s_cbranch_execz .LBB8_1714
; %bb.1709:
	s_mov_b32 s7, exec_lo
                                        ; implicit-def: $vgpr3
	v_cmpx_lt_u32_e32 0x3c7fffff, v6
	s_xor_b32 s7, exec_lo, s7
; %bb.1710:
	v_bfe_u32 v3, v2, 20, 1
	v_add3_u32 v3, v2, v3, 0x407ffff
	v_and_b32_e32 v6, 0xff00000, v3
	v_lshrrev_b32_e32 v3, 20, v3
	v_cmp_ne_u32_e32 vcc_lo, 0x7f00000, v6
	v_cndmask_b32_e32 v3, 0x7e, v3, vcc_lo
; %bb.1711:
	s_andn2_saveexec_b32 s7, s7
; %bb.1712:
	v_add_f32_e64 v3, 0x46800000, |v2|
; %bb.1713:
	s_or_b32 exec_lo, exec_lo, s7
                                        ; implicit-def: $vgpr6
.LBB8_1714:
	s_andn2_saveexec_b32 s6, s6
; %bb.1715:
	v_mov_b32_e32 v3, 0x7f
	v_cmp_lt_u32_e32 vcc_lo, 0x7f800000, v6
	v_cndmask_b32_e32 v3, 0x7e, v3, vcc_lo
; %bb.1716:
	s_or_b32 exec_lo, exec_lo, s6
	v_lshrrev_b32_e32 v2, 24, v2
	v_and_or_b32 v2, 0x80, v2, v3
	global_store_byte v[4:5], v2, off
.LBB8_1717:
	s_mov_b32 s6, 0
.LBB8_1718:
	s_andn2_b32 vcc_lo, exec_lo, s6
	s_cbranch_vccnz .LBB8_1728
; %bb.1719:
	v_cvt_f32_f64_e32 v2, v[0:1]
	s_mov_b32 s6, exec_lo
                                        ; implicit-def: $vgpr3
	v_and_b32_e32 v6, 0x7fffffff, v2
	v_cmpx_gt_u32_e32 0x47800000, v6
	s_xor_b32 s6, exec_lo, s6
	s_cbranch_execz .LBB8_1725
; %bb.1720:
	s_mov_b32 s7, exec_lo
                                        ; implicit-def: $vgpr3
	v_cmpx_lt_u32_e32 0x387fffff, v6
	s_xor_b32 s7, exec_lo, s7
; %bb.1721:
	v_bfe_u32 v3, v2, 21, 1
	v_add3_u32 v3, v2, v3, 0x80fffff
	v_lshrrev_b32_e32 v3, 21, v3
; %bb.1722:
	s_andn2_saveexec_b32 s7, s7
; %bb.1723:
	v_add_f32_e64 v3, 0x43000000, |v2|
; %bb.1724:
	s_or_b32 exec_lo, exec_lo, s7
                                        ; implicit-def: $vgpr6
.LBB8_1725:
	s_andn2_saveexec_b32 s6, s6
; %bb.1726:
	v_mov_b32_e32 v3, 0x7f
	v_cmp_lt_u32_e32 vcc_lo, 0x7f800000, v6
	v_cndmask_b32_e32 v3, 0x7c, v3, vcc_lo
; %bb.1727:
	s_or_b32 exec_lo, exec_lo, s6
	v_lshrrev_b32_e32 v2, 24, v2
	v_and_or_b32 v2, 0x80, v2, v3
	global_store_byte v[4:5], v2, off
.LBB8_1728:
	s_mov_b32 s6, 0
	s_mov_b32 s7, -1
.LBB8_1729:
	s_andn2_b32 vcc_lo, exec_lo, s6
	s_mov_b32 s6, 0
	s_cbranch_vccnz .LBB8_1736
; %bb.1730:
	s_cmp_gt_i32 s5, 14
	s_mov_b32 s6, -1
	s_cbranch_scc0 .LBB8_1734
; %bb.1731:
	s_cmp_eq_u32 s5, 15
	s_mov_b32 s4, -1
	s_cbranch_scc0 .LBB8_1733
; %bb.1732:
	v_cvt_f32_f64_e32 v2, v[0:1]
	s_mov_b32 s4, 0
	s_mov_b32 s7, -1
	v_bfe_u32 v3, v2, 16, 1
	v_cmp_o_f32_e32 vcc_lo, v2, v2
	v_add3_u32 v2, v2, v3, 0x7fff
	v_mov_b32_e32 v3, 0x7fc0
	v_cndmask_b32_sdwa v2, v3, v2, vcc_lo dst_sel:DWORD dst_unused:UNUSED_PAD src0_sel:DWORD src1_sel:WORD_1
	global_store_short v[4:5], v2, off
.LBB8_1733:
	s_mov_b32 s6, 0
.LBB8_1734:
	s_and_b32 vcc_lo, exec_lo, s6
	s_mov_b32 s6, 0
	s_cbranch_vccz .LBB8_1736
; %bb.1735:
	s_cmp_lg_u32 s5, 11
	s_mov_b32 s6, -1
	s_cselect_b32 s4, -1, 0
.LBB8_1736:
	s_and_b32 vcc_lo, exec_lo, s4
	s_cbranch_vccnz .LBB8_2144
; %bb.1737:
	s_andn2_b32 vcc_lo, exec_lo, s6
	s_cbranch_vccnz .LBB8_1739
.LBB8_1738:
	v_cmp_neq_f64_e32 vcc_lo, 0, v[0:1]
	s_mov_b32 s7, -1
	v_cndmask_b32_e64 v2, 0, 1, vcc_lo
	global_store_byte v[4:5], v2, off
.LBB8_1739:
	s_mov_b32 s4, 0
	s_branch .LBB8_1741
.LBB8_1740:
	s_mov_b32 s4, -1
	s_mov_b32 s7, 0
.LBB8_1741:
	s_and_b32 vcc_lo, exec_lo, s4
	s_cbranch_vccz .LBB8_1780
; %bb.1742:
	s_and_b32 s4, 0xffff, s33
	s_mov_b32 s5, -1
	s_cmp_lt_i32 s4, 5
	s_cbranch_scc1 .LBB8_1763
; %bb.1743:
	s_cmp_lt_i32 s4, 8
	s_cbranch_scc1 .LBB8_1753
; %bb.1744:
	s_cmp_lt_i32 s4, 9
	s_cbranch_scc1 .LBB8_1750
; %bb.1745:
	s_cmp_gt_i32 s4, 9
	s_cbranch_scc0 .LBB8_1747
; %bb.1746:
	v_mov_b32_e32 v2, 0
	s_mov_b32 s5, 0
	v_mov_b32_e32 v3, v2
	global_store_dwordx4 v[4:5], v[0:3], off
.LBB8_1747:
	s_andn2_b32 vcc_lo, exec_lo, s5
	s_cbranch_vccnz .LBB8_1749
; %bb.1748:
	v_cvt_f32_f64_e32 v2, v[0:1]
	v_mov_b32_e32 v3, 0
	global_store_dwordx2 v[4:5], v[2:3], off
.LBB8_1749:
	s_mov_b32 s5, 0
.LBB8_1750:
	s_andn2_b32 vcc_lo, exec_lo, s5
	s_cbranch_vccnz .LBB8_1752
; %bb.1751:
	v_and_or_b32 v2, 0x1ff, v1, v0
	v_lshrrev_b32_e32 v3, 8, v1
	v_bfe_u32 v6, v1, 20, 11
	v_cmp_ne_u32_e32 vcc_lo, 0, v2
	v_sub_nc_u32_e32 v7, 0x3f1, v6
	v_add_nc_u32_e32 v6, 0xfffffc10, v6
	v_cndmask_b32_e64 v2, 0, 1, vcc_lo
	v_and_or_b32 v2, 0xffe, v3, v2
	v_med3_i32 v3, v7, 0, 13
	v_or_b32_e32 v7, 0x1000, v2
	v_lshrrev_b32_e32 v8, v3, v7
	v_lshlrev_b32_e32 v3, v3, v8
	v_cmp_ne_u32_e32 vcc_lo, v3, v7
	v_lshl_or_b32 v7, v6, 12, v2
	v_cndmask_b32_e64 v3, 0, 1, vcc_lo
	v_cmp_gt_i32_e32 vcc_lo, 1, v6
	v_or_b32_e32 v3, v8, v3
	v_cndmask_b32_e32 v3, v7, v3, vcc_lo
	v_and_b32_e32 v7, 7, v3
	v_lshrrev_b32_e32 v3, 2, v3
	v_cmp_lt_i32_e32 vcc_lo, 5, v7
	v_cndmask_b32_e64 v8, 0, 1, vcc_lo
	v_cmp_eq_u32_e32 vcc_lo, 3, v7
	v_cndmask_b32_e64 v7, 0, 1, vcc_lo
	v_cmp_ne_u32_e32 vcc_lo, 0, v2
	v_or_b32_e32 v7, v7, v8
	v_mov_b32_e32 v8, 0x7e00
	v_add_nc_u32_e32 v3, v3, v7
	v_cndmask_b32_e32 v2, 0x7c00, v8, vcc_lo
	v_cmp_gt_i32_e32 vcc_lo, 31, v6
	v_cndmask_b32_e32 v3, 0x7c00, v3, vcc_lo
	v_cmp_eq_u32_e32 vcc_lo, 0x40f, v6
	v_cndmask_b32_e32 v2, v3, v2, vcc_lo
	v_lshrrev_b32_e32 v3, 16, v1
	v_and_or_b32 v2, 0x8000, v3, v2
	v_and_b32_e32 v2, 0xffff, v2
	global_store_dword v[4:5], v2, off
.LBB8_1752:
	s_mov_b32 s5, 0
.LBB8_1753:
	s_andn2_b32 vcc_lo, exec_lo, s5
	s_cbranch_vccnz .LBB8_1762
; %bb.1754:
	s_cmp_lt_i32 s4, 6
	s_mov_b32 s5, -1
	s_cbranch_scc1 .LBB8_1760
; %bb.1755:
	s_cmp_gt_i32 s4, 6
	s_cbranch_scc0 .LBB8_1757
; %bb.1756:
	s_mov_b32 s5, 0
	global_store_dwordx2 v[4:5], v[0:1], off
.LBB8_1757:
	s_andn2_b32 vcc_lo, exec_lo, s5
	s_cbranch_vccnz .LBB8_1759
; %bb.1758:
	v_cvt_f32_f64_e32 v2, v[0:1]
	global_store_dword v[4:5], v2, off
.LBB8_1759:
	s_mov_b32 s5, 0
.LBB8_1760:
	s_andn2_b32 vcc_lo, exec_lo, s5
	s_cbranch_vccnz .LBB8_1762
; %bb.1761:
	v_and_or_b32 v2, 0x1ff, v1, v0
	v_lshrrev_b32_e32 v3, 8, v1
	v_bfe_u32 v6, v1, 20, 11
	v_cmp_ne_u32_e32 vcc_lo, 0, v2
	v_sub_nc_u32_e32 v7, 0x3f1, v6
	v_add_nc_u32_e32 v6, 0xfffffc10, v6
	v_cndmask_b32_e64 v2, 0, 1, vcc_lo
	v_and_or_b32 v2, 0xffe, v3, v2
	v_med3_i32 v3, v7, 0, 13
	v_or_b32_e32 v7, 0x1000, v2
	v_lshrrev_b32_e32 v8, v3, v7
	v_lshlrev_b32_e32 v3, v3, v8
	v_cmp_ne_u32_e32 vcc_lo, v3, v7
	v_lshl_or_b32 v7, v6, 12, v2
	v_cndmask_b32_e64 v3, 0, 1, vcc_lo
	v_cmp_gt_i32_e32 vcc_lo, 1, v6
	v_or_b32_e32 v3, v8, v3
	v_cndmask_b32_e32 v3, v7, v3, vcc_lo
	v_and_b32_e32 v7, 7, v3
	v_lshrrev_b32_e32 v3, 2, v3
	v_cmp_lt_i32_e32 vcc_lo, 5, v7
	v_cndmask_b32_e64 v8, 0, 1, vcc_lo
	v_cmp_eq_u32_e32 vcc_lo, 3, v7
	v_cndmask_b32_e64 v7, 0, 1, vcc_lo
	v_cmp_ne_u32_e32 vcc_lo, 0, v2
	v_or_b32_e32 v7, v7, v8
	v_mov_b32_e32 v8, 0x7e00
	v_add_nc_u32_e32 v3, v3, v7
	v_cndmask_b32_e32 v2, 0x7c00, v8, vcc_lo
	v_cmp_gt_i32_e32 vcc_lo, 31, v6
	v_cndmask_b32_e32 v3, 0x7c00, v3, vcc_lo
	v_cmp_eq_u32_e32 vcc_lo, 0x40f, v6
	v_cndmask_b32_e32 v2, v3, v2, vcc_lo
	v_lshrrev_b32_e32 v3, 16, v1
	v_and_or_b32 v2, 0x8000, v3, v2
	global_store_short v[4:5], v2, off
.LBB8_1762:
	s_mov_b32 s5, 0
.LBB8_1763:
	s_andn2_b32 vcc_lo, exec_lo, s5
	s_cbranch_vccnz .LBB8_1779
; %bb.1764:
	s_cmp_lt_i32 s4, 2
	s_mov_b32 s5, -1
	s_cbranch_scc1 .LBB8_1774
; %bb.1765:
	s_cmp_lt_i32 s4, 3
	s_cbranch_scc1 .LBB8_1771
; %bb.1766:
	s_cmp_gt_i32 s4, 3
	s_cbranch_scc0 .LBB8_1768
; %bb.1767:
	v_trunc_f64_e32 v[2:3], v[0:1]
	s_mov_b32 s5, 0
	v_ldexp_f64 v[6:7], v[2:3], 0xffffffe0
	v_floor_f64_e32 v[6:7], v[6:7]
	v_fma_f64 v[2:3], 0xc1f00000, v[6:7], v[2:3]
	v_cvt_i32_f64_e32 v7, v[6:7]
	v_cvt_u32_f64_e32 v6, v[2:3]
	global_store_dwordx2 v[4:5], v[6:7], off
.LBB8_1768:
	s_andn2_b32 vcc_lo, exec_lo, s5
	s_cbranch_vccnz .LBB8_1770
; %bb.1769:
	v_cvt_i32_f64_e32 v2, v[0:1]
	global_store_dword v[4:5], v2, off
.LBB8_1770:
	s_mov_b32 s5, 0
.LBB8_1771:
	s_andn2_b32 vcc_lo, exec_lo, s5
	s_cbranch_vccnz .LBB8_1773
; %bb.1772:
	v_cvt_i32_f64_e32 v2, v[0:1]
	global_store_short v[4:5], v2, off
.LBB8_1773:
	s_mov_b32 s5, 0
.LBB8_1774:
	s_andn2_b32 vcc_lo, exec_lo, s5
	s_cbranch_vccnz .LBB8_1779
; %bb.1775:
	s_cmp_gt_i32 s4, 0
	s_mov_b32 s4, -1
	s_cbranch_scc0 .LBB8_1777
; %bb.1776:
	v_cvt_i32_f64_e32 v2, v[0:1]
	s_mov_b32 s4, 0
	global_store_byte v[4:5], v2, off
.LBB8_1777:
	s_andn2_b32 vcc_lo, exec_lo, s4
	s_cbranch_vccnz .LBB8_1779
; %bb.1778:
	v_trunc_f64_e32 v[0:1], v[0:1]
	v_ldexp_f64 v[2:3], v[0:1], 0xffffffe0
	v_floor_f64_e32 v[2:3], v[2:3]
	v_fma_f64 v[0:1], 0xc1f00000, v[2:3], v[0:1]
	v_cvt_u32_f64_e32 v0, v[0:1]
	global_store_byte v[4:5], v0, off
.LBB8_1779:
	s_mov_b32 s7, -1
.LBB8_1780:
	s_andn2_b32 vcc_lo, exec_lo, s7
	s_cbranch_vccnz .LBB8_2095
; %bb.1781:
	s_lshr_b32 s4, s27, 8
	v_mov_b32_e32 v0, v44
	v_mov_b32_e32 v1, v45
	s_and_b32 s36, s4, 0xff
	s_getpc_b64 s[4:5]
	s_add_u32 s4, s4, _ZZZZN2at6native12_GLOBAL__N_121bessel_j1_kernel_cudaERNS_18TensorIteratorBaseEENKUlvE_clEvENKUlvE_clEvENKUldE_clEd@rel32@lo+4
	s_addc_u32 s5, s5, _ZZZZN2at6native12_GLOBAL__N_121bessel_j1_kernel_cudaERNS_18TensorIteratorBaseEENKUlvE_clEvENKUlvE_clEvENKUldE_clEd@rel32@hi+12
	s_swappc_b64 s[30:31], s[4:5]
	v_add_co_u32 v4, s4, s28, v58
	v_add_co_ci_u32_e64 v5, null, s29, 0, s4
	s_cmp_lt_i32 s36, 11
	s_cbranch_scc1 .LBB8_1859
; %bb.1782:
	s_and_b32 s5, 0xffff, s36
	s_mov_b32 s8, -1
	s_mov_b32 s6, 0
	s_cmp_gt_i32 s5, 25
	s_mov_b32 s7, 0
	s_mov_b32 s4, 0
	s_cbranch_scc0 .LBB8_1815
; %bb.1783:
	s_cmp_gt_i32 s5, 28
	s_cbranch_scc0 .LBB8_1798
; %bb.1784:
	s_cmp_gt_i32 s5, 43
	;; [unrolled: 3-line block ×3, first 2 shown]
	s_cbranch_scc0 .LBB8_1788
; %bb.1786:
	s_mov_b32 s4, -1
	s_mov_b32 s8, 0
	s_cmp_eq_u32 s5, 46
	s_cbranch_scc0 .LBB8_1788
; %bb.1787:
	v_cvt_f32_f64_e32 v2, v[0:1]
	s_mov_b32 s4, 0
	s_mov_b32 s7, -1
	v_bfe_u32 v3, v2, 16, 1
	v_cmp_o_f32_e32 vcc_lo, v2, v2
	v_add3_u32 v2, v2, v3, 0x7fff
	v_mov_b32_e32 v3, 0x7fc0
	v_cndmask_b32_sdwa v2, v3, v2, vcc_lo dst_sel:DWORD dst_unused:UNUSED_PAD src0_sel:DWORD src1_sel:WORD_1
	global_store_dword v[4:5], v2, off
.LBB8_1788:
	s_and_b32 vcc_lo, exec_lo, s8
	s_cbranch_vccz .LBB8_1793
; %bb.1789:
	s_cmp_eq_u32 s5, 44
	s_mov_b32 s4, -1
	s_cbranch_scc0 .LBB8_1793
; %bb.1790:
	v_cvt_f32_f64_e32 v2, v[0:1]
	v_mov_b32_e32 v3, 0xff
	s_mov_b32 s7, exec_lo
	v_bfe_u32 v6, v2, 23, 8
	v_cmpx_ne_u32_e32 0xff, v6
	s_cbranch_execz .LBB8_1792
; %bb.1791:
	v_and_b32_e32 v3, 0x400000, v2
	v_and_or_b32 v6, 0x3fffff, v2, v6
	v_lshrrev_b32_e32 v2, 23, v2
	v_cmp_ne_u32_e32 vcc_lo, 0, v3
	v_cmp_ne_u32_e64 s4, 0, v6
	s_and_b32 s4, vcc_lo, s4
	v_cndmask_b32_e64 v3, 0, 1, s4
	v_add_nc_u32_e32 v3, v2, v3
.LBB8_1792:
	s_or_b32 exec_lo, exec_lo, s7
	s_mov_b32 s4, 0
	s_mov_b32 s7, -1
	global_store_byte v[4:5], v3, off
.LBB8_1793:
	s_mov_b32 s8, 0
.LBB8_1794:
	s_and_b32 vcc_lo, exec_lo, s8
	s_cbranch_vccz .LBB8_1797
; %bb.1795:
	s_cmp_eq_u32 s5, 29
	s_mov_b32 s4, -1
	s_cbranch_scc0 .LBB8_1797
; %bb.1796:
	v_trunc_f64_e32 v[2:3], v[0:1]
	s_mov_b32 s4, 0
	s_mov_b32 s7, -1
	v_ldexp_f64 v[6:7], v[2:3], 0xffffffe0
	v_floor_f64_e32 v[6:7], v[6:7]
	v_fma_f64 v[2:3], 0xc1f00000, v[6:7], v[2:3]
	v_cvt_u32_f64_e32 v7, v[6:7]
	v_cvt_u32_f64_e32 v6, v[2:3]
	global_store_dwordx2 v[4:5], v[6:7], off
.LBB8_1797:
	s_mov_b32 s8, 0
.LBB8_1798:
	s_and_b32 vcc_lo, exec_lo, s8
	s_cbranch_vccz .LBB8_1814
; %bb.1799:
	s_cmp_lt_i32 s5, 27
	s_mov_b32 s7, -1
	s_cbranch_scc1 .LBB8_1805
; %bb.1800:
	s_cmp_gt_i32 s5, 27
	s_cbranch_scc0 .LBB8_1802
; %bb.1801:
	v_cvt_u32_f64_e32 v2, v[0:1]
	s_mov_b32 s7, 0
	global_store_dword v[4:5], v2, off
.LBB8_1802:
	s_andn2_b32 vcc_lo, exec_lo, s7
	s_cbranch_vccnz .LBB8_1804
; %bb.1803:
	v_cvt_u32_f64_e32 v2, v[0:1]
	global_store_short v[4:5], v2, off
.LBB8_1804:
	s_mov_b32 s7, 0
.LBB8_1805:
	s_andn2_b32 vcc_lo, exec_lo, s7
	s_cbranch_vccnz .LBB8_1813
; %bb.1806:
	v_cvt_f32_f64_e32 v2, v[0:1]
	v_mov_b32_e32 v6, 0x80
	s_mov_b32 s7, exec_lo
	v_and_b32_e32 v3, 0x7fffffff, v2
	v_cmpx_gt_u32_e32 0x43800000, v3
	s_cbranch_execz .LBB8_1812
; %bb.1807:
	v_cmp_lt_u32_e32 vcc_lo, 0x3bffffff, v3
	s_mov_b32 s8, 0
                                        ; implicit-def: $vgpr3
	s_and_saveexec_b32 s9, vcc_lo
	s_xor_b32 s9, exec_lo, s9
	s_cbranch_execz .LBB8_2147
; %bb.1808:
	v_bfe_u32 v3, v2, 20, 1
	s_mov_b32 s8, exec_lo
	v_add3_u32 v3, v2, v3, 0x487ffff
	v_lshrrev_b32_e32 v3, 20, v3
	s_andn2_saveexec_b32 s9, s9
	s_cbranch_execnz .LBB8_2148
.LBB8_1809:
	s_or_b32 exec_lo, exec_lo, s9
	v_mov_b32_e32 v6, 0
	s_and_saveexec_b32 s9, s8
.LBB8_1810:
	v_lshrrev_b32_e32 v2, 24, v2
	v_and_or_b32 v6, 0x80, v2, v3
.LBB8_1811:
	s_or_b32 exec_lo, exec_lo, s9
.LBB8_1812:
	s_or_b32 exec_lo, exec_lo, s7
	global_store_byte v[4:5], v6, off
.LBB8_1813:
	s_mov_b32 s7, -1
.LBB8_1814:
	s_mov_b32 s8, 0
.LBB8_1815:
	s_and_b32 vcc_lo, exec_lo, s8
	s_cbranch_vccz .LBB8_1855
; %bb.1816:
	s_cmp_gt_i32 s5, 22
	s_mov_b32 s6, -1
	s_cbranch_scc0 .LBB8_1848
; %bb.1817:
	s_cmp_lt_i32 s5, 24
	s_cbranch_scc1 .LBB8_1837
; %bb.1818:
	s_cmp_gt_i32 s5, 24
	s_cbranch_scc0 .LBB8_1826
; %bb.1819:
	v_cvt_f32_f64_e32 v2, v[0:1]
	v_mov_b32_e32 v6, 0x80
	s_mov_b32 s6, exec_lo
	v_and_b32_e32 v3, 0x7fffffff, v2
	v_cmpx_gt_u32_e32 0x47800000, v3
	s_cbranch_execz .LBB8_1825
; %bb.1820:
	v_cmp_lt_u32_e32 vcc_lo, 0x37ffffff, v3
	s_mov_b32 s7, 0
                                        ; implicit-def: $vgpr3
	s_and_saveexec_b32 s8, vcc_lo
	s_xor_b32 s8, exec_lo, s8
	s_cbranch_execz .LBB8_2150
; %bb.1821:
	v_bfe_u32 v3, v2, 21, 1
	s_mov_b32 s7, exec_lo
	v_add3_u32 v3, v2, v3, 0x88fffff
	v_lshrrev_b32_e32 v3, 21, v3
	s_andn2_saveexec_b32 s8, s8
	s_cbranch_execnz .LBB8_2151
.LBB8_1822:
	s_or_b32 exec_lo, exec_lo, s8
	v_mov_b32_e32 v6, 0
	s_and_saveexec_b32 s8, s7
.LBB8_1823:
	v_lshrrev_b32_e32 v2, 24, v2
	v_and_or_b32 v6, 0x80, v2, v3
.LBB8_1824:
	s_or_b32 exec_lo, exec_lo, s8
.LBB8_1825:
	s_or_b32 exec_lo, exec_lo, s6
	s_mov_b32 s6, 0
	global_store_byte v[4:5], v6, off
.LBB8_1826:
	s_and_b32 vcc_lo, exec_lo, s6
	s_cbranch_vccz .LBB8_1836
; %bb.1827:
	v_cvt_f32_f64_e32 v2, v[0:1]
	s_mov_b32 s6, exec_lo
                                        ; implicit-def: $vgpr3
	v_and_b32_e32 v6, 0x7fffffff, v2
	v_cmpx_gt_u32_e32 0x43f00000, v6
	s_xor_b32 s6, exec_lo, s6
	s_cbranch_execz .LBB8_1833
; %bb.1828:
	s_mov_b32 s7, exec_lo
                                        ; implicit-def: $vgpr3
	v_cmpx_lt_u32_e32 0x3c7fffff, v6
	s_xor_b32 s7, exec_lo, s7
; %bb.1829:
	v_bfe_u32 v3, v2, 20, 1
	v_add3_u32 v3, v2, v3, 0x407ffff
	v_and_b32_e32 v6, 0xff00000, v3
	v_lshrrev_b32_e32 v3, 20, v3
	v_cmp_ne_u32_e32 vcc_lo, 0x7f00000, v6
	v_cndmask_b32_e32 v3, 0x7e, v3, vcc_lo
; %bb.1830:
	s_andn2_saveexec_b32 s7, s7
; %bb.1831:
	v_add_f32_e64 v3, 0x46800000, |v2|
; %bb.1832:
	s_or_b32 exec_lo, exec_lo, s7
                                        ; implicit-def: $vgpr6
.LBB8_1833:
	s_andn2_saveexec_b32 s6, s6
; %bb.1834:
	v_mov_b32_e32 v3, 0x7f
	v_cmp_lt_u32_e32 vcc_lo, 0x7f800000, v6
	v_cndmask_b32_e32 v3, 0x7e, v3, vcc_lo
; %bb.1835:
	s_or_b32 exec_lo, exec_lo, s6
	v_lshrrev_b32_e32 v2, 24, v2
	v_and_or_b32 v2, 0x80, v2, v3
	global_store_byte v[4:5], v2, off
.LBB8_1836:
	s_mov_b32 s6, 0
.LBB8_1837:
	s_andn2_b32 vcc_lo, exec_lo, s6
	s_cbranch_vccnz .LBB8_1847
; %bb.1838:
	v_cvt_f32_f64_e32 v2, v[0:1]
	s_mov_b32 s6, exec_lo
                                        ; implicit-def: $vgpr3
	v_and_b32_e32 v6, 0x7fffffff, v2
	v_cmpx_gt_u32_e32 0x47800000, v6
	s_xor_b32 s6, exec_lo, s6
	s_cbranch_execz .LBB8_1844
; %bb.1839:
	s_mov_b32 s7, exec_lo
                                        ; implicit-def: $vgpr3
	v_cmpx_lt_u32_e32 0x387fffff, v6
	s_xor_b32 s7, exec_lo, s7
; %bb.1840:
	v_bfe_u32 v3, v2, 21, 1
	v_add3_u32 v3, v2, v3, 0x80fffff
	v_lshrrev_b32_e32 v3, 21, v3
; %bb.1841:
	s_andn2_saveexec_b32 s7, s7
; %bb.1842:
	v_add_f32_e64 v3, 0x43000000, |v2|
; %bb.1843:
	s_or_b32 exec_lo, exec_lo, s7
                                        ; implicit-def: $vgpr6
.LBB8_1844:
	s_andn2_saveexec_b32 s6, s6
; %bb.1845:
	v_mov_b32_e32 v3, 0x7f
	v_cmp_lt_u32_e32 vcc_lo, 0x7f800000, v6
	v_cndmask_b32_e32 v3, 0x7c, v3, vcc_lo
; %bb.1846:
	s_or_b32 exec_lo, exec_lo, s6
	v_lshrrev_b32_e32 v2, 24, v2
	v_and_or_b32 v2, 0x80, v2, v3
	global_store_byte v[4:5], v2, off
.LBB8_1847:
	s_mov_b32 s6, 0
	s_mov_b32 s7, -1
.LBB8_1848:
	s_andn2_b32 vcc_lo, exec_lo, s6
	s_mov_b32 s6, 0
	s_cbranch_vccnz .LBB8_1855
; %bb.1849:
	s_cmp_gt_i32 s5, 14
	s_mov_b32 s6, -1
	s_cbranch_scc0 .LBB8_1853
; %bb.1850:
	s_cmp_eq_u32 s5, 15
	s_mov_b32 s4, -1
	s_cbranch_scc0 .LBB8_1852
; %bb.1851:
	v_cvt_f32_f64_e32 v2, v[0:1]
	s_mov_b32 s4, 0
	s_mov_b32 s7, -1
	v_bfe_u32 v3, v2, 16, 1
	v_cmp_o_f32_e32 vcc_lo, v2, v2
	v_add3_u32 v2, v2, v3, 0x7fff
	v_mov_b32_e32 v3, 0x7fc0
	v_cndmask_b32_sdwa v2, v3, v2, vcc_lo dst_sel:DWORD dst_unused:UNUSED_PAD src0_sel:DWORD src1_sel:WORD_1
	global_store_short v[4:5], v2, off
.LBB8_1852:
	s_mov_b32 s6, 0
.LBB8_1853:
	s_and_b32 vcc_lo, exec_lo, s6
	s_mov_b32 s6, 0
	s_cbranch_vccz .LBB8_1855
; %bb.1854:
	s_cmp_lg_u32 s5, 11
	s_mov_b32 s6, -1
	s_cselect_b32 s4, -1, 0
.LBB8_1855:
	s_and_b32 vcc_lo, exec_lo, s4
	s_cbranch_vccnz .LBB8_2149
; %bb.1856:
	s_andn2_b32 vcc_lo, exec_lo, s6
	s_cbranch_vccnz .LBB8_1858
.LBB8_1857:
	v_cmp_neq_f64_e32 vcc_lo, 0, v[0:1]
	s_mov_b32 s7, -1
	v_cndmask_b32_e64 v2, 0, 1, vcc_lo
	global_store_byte v[4:5], v2, off
.LBB8_1858:
	s_mov_b32 s4, 0
	s_branch .LBB8_1860
.LBB8_1859:
	s_mov_b32 s4, -1
	s_mov_b32 s7, 0
.LBB8_1860:
	s_and_b32 vcc_lo, exec_lo, s4
	s_cbranch_vccz .LBB8_1899
; %bb.1861:
	s_and_b32 s4, 0xffff, s36
	s_mov_b32 s5, -1
	s_cmp_lt_i32 s4, 5
	s_cbranch_scc1 .LBB8_1882
; %bb.1862:
	s_cmp_lt_i32 s4, 8
	s_cbranch_scc1 .LBB8_1872
; %bb.1863:
	;; [unrolled: 3-line block ×3, first 2 shown]
	s_cmp_gt_i32 s4, 9
	s_cbranch_scc0 .LBB8_1866
; %bb.1865:
	v_mov_b32_e32 v2, 0
	s_mov_b32 s5, 0
	v_mov_b32_e32 v3, v2
	global_store_dwordx4 v[4:5], v[0:3], off
.LBB8_1866:
	s_andn2_b32 vcc_lo, exec_lo, s5
	s_cbranch_vccnz .LBB8_1868
; %bb.1867:
	v_cvt_f32_f64_e32 v2, v[0:1]
	v_mov_b32_e32 v3, 0
	global_store_dwordx2 v[4:5], v[2:3], off
.LBB8_1868:
	s_mov_b32 s5, 0
.LBB8_1869:
	s_andn2_b32 vcc_lo, exec_lo, s5
	s_cbranch_vccnz .LBB8_1871
; %bb.1870:
	v_and_or_b32 v2, 0x1ff, v1, v0
	v_lshrrev_b32_e32 v3, 8, v1
	v_bfe_u32 v6, v1, 20, 11
	v_cmp_ne_u32_e32 vcc_lo, 0, v2
	v_sub_nc_u32_e32 v7, 0x3f1, v6
	v_add_nc_u32_e32 v6, 0xfffffc10, v6
	v_cndmask_b32_e64 v2, 0, 1, vcc_lo
	v_and_or_b32 v2, 0xffe, v3, v2
	v_med3_i32 v3, v7, 0, 13
	v_or_b32_e32 v7, 0x1000, v2
	v_lshrrev_b32_e32 v8, v3, v7
	v_lshlrev_b32_e32 v3, v3, v8
	v_cmp_ne_u32_e32 vcc_lo, v3, v7
	v_lshl_or_b32 v7, v6, 12, v2
	v_cndmask_b32_e64 v3, 0, 1, vcc_lo
	v_cmp_gt_i32_e32 vcc_lo, 1, v6
	v_or_b32_e32 v3, v8, v3
	v_cndmask_b32_e32 v3, v7, v3, vcc_lo
	v_and_b32_e32 v7, 7, v3
	v_lshrrev_b32_e32 v3, 2, v3
	v_cmp_lt_i32_e32 vcc_lo, 5, v7
	v_cndmask_b32_e64 v8, 0, 1, vcc_lo
	v_cmp_eq_u32_e32 vcc_lo, 3, v7
	v_cndmask_b32_e64 v7, 0, 1, vcc_lo
	v_cmp_ne_u32_e32 vcc_lo, 0, v2
	v_or_b32_e32 v7, v7, v8
	v_mov_b32_e32 v8, 0x7e00
	v_add_nc_u32_e32 v3, v3, v7
	v_cndmask_b32_e32 v2, 0x7c00, v8, vcc_lo
	v_cmp_gt_i32_e32 vcc_lo, 31, v6
	v_cndmask_b32_e32 v3, 0x7c00, v3, vcc_lo
	v_cmp_eq_u32_e32 vcc_lo, 0x40f, v6
	v_cndmask_b32_e32 v2, v3, v2, vcc_lo
	v_lshrrev_b32_e32 v3, 16, v1
	v_and_or_b32 v2, 0x8000, v3, v2
	v_and_b32_e32 v2, 0xffff, v2
	global_store_dword v[4:5], v2, off
.LBB8_1871:
	s_mov_b32 s5, 0
.LBB8_1872:
	s_andn2_b32 vcc_lo, exec_lo, s5
	s_cbranch_vccnz .LBB8_1881
; %bb.1873:
	s_cmp_lt_i32 s4, 6
	s_mov_b32 s5, -1
	s_cbranch_scc1 .LBB8_1879
; %bb.1874:
	s_cmp_gt_i32 s4, 6
	s_cbranch_scc0 .LBB8_1876
; %bb.1875:
	s_mov_b32 s5, 0
	global_store_dwordx2 v[4:5], v[0:1], off
.LBB8_1876:
	s_andn2_b32 vcc_lo, exec_lo, s5
	s_cbranch_vccnz .LBB8_1878
; %bb.1877:
	v_cvt_f32_f64_e32 v2, v[0:1]
	global_store_dword v[4:5], v2, off
.LBB8_1878:
	s_mov_b32 s5, 0
.LBB8_1879:
	s_andn2_b32 vcc_lo, exec_lo, s5
	s_cbranch_vccnz .LBB8_1881
; %bb.1880:
	v_and_or_b32 v2, 0x1ff, v1, v0
	v_lshrrev_b32_e32 v3, 8, v1
	v_bfe_u32 v6, v1, 20, 11
	v_cmp_ne_u32_e32 vcc_lo, 0, v2
	v_sub_nc_u32_e32 v7, 0x3f1, v6
	v_add_nc_u32_e32 v6, 0xfffffc10, v6
	v_cndmask_b32_e64 v2, 0, 1, vcc_lo
	v_and_or_b32 v2, 0xffe, v3, v2
	v_med3_i32 v3, v7, 0, 13
	v_or_b32_e32 v7, 0x1000, v2
	v_lshrrev_b32_e32 v8, v3, v7
	v_lshlrev_b32_e32 v3, v3, v8
	v_cmp_ne_u32_e32 vcc_lo, v3, v7
	v_lshl_or_b32 v7, v6, 12, v2
	v_cndmask_b32_e64 v3, 0, 1, vcc_lo
	v_cmp_gt_i32_e32 vcc_lo, 1, v6
	v_or_b32_e32 v3, v8, v3
	v_cndmask_b32_e32 v3, v7, v3, vcc_lo
	v_and_b32_e32 v7, 7, v3
	v_lshrrev_b32_e32 v3, 2, v3
	v_cmp_lt_i32_e32 vcc_lo, 5, v7
	v_cndmask_b32_e64 v8, 0, 1, vcc_lo
	v_cmp_eq_u32_e32 vcc_lo, 3, v7
	v_cndmask_b32_e64 v7, 0, 1, vcc_lo
	v_cmp_ne_u32_e32 vcc_lo, 0, v2
	v_or_b32_e32 v7, v7, v8
	v_mov_b32_e32 v8, 0x7e00
	v_add_nc_u32_e32 v3, v3, v7
	v_cndmask_b32_e32 v2, 0x7c00, v8, vcc_lo
	v_cmp_gt_i32_e32 vcc_lo, 31, v6
	v_cndmask_b32_e32 v3, 0x7c00, v3, vcc_lo
	v_cmp_eq_u32_e32 vcc_lo, 0x40f, v6
	v_cndmask_b32_e32 v2, v3, v2, vcc_lo
	v_lshrrev_b32_e32 v3, 16, v1
	v_and_or_b32 v2, 0x8000, v3, v2
	global_store_short v[4:5], v2, off
.LBB8_1881:
	s_mov_b32 s5, 0
.LBB8_1882:
	s_andn2_b32 vcc_lo, exec_lo, s5
	s_cbranch_vccnz .LBB8_1898
; %bb.1883:
	s_cmp_lt_i32 s4, 2
	s_mov_b32 s5, -1
	s_cbranch_scc1 .LBB8_1893
; %bb.1884:
	s_cmp_lt_i32 s4, 3
	s_cbranch_scc1 .LBB8_1890
; %bb.1885:
	s_cmp_gt_i32 s4, 3
	s_cbranch_scc0 .LBB8_1887
; %bb.1886:
	v_trunc_f64_e32 v[2:3], v[0:1]
	s_mov_b32 s5, 0
	v_ldexp_f64 v[6:7], v[2:3], 0xffffffe0
	v_floor_f64_e32 v[6:7], v[6:7]
	v_fma_f64 v[2:3], 0xc1f00000, v[6:7], v[2:3]
	v_cvt_i32_f64_e32 v7, v[6:7]
	v_cvt_u32_f64_e32 v6, v[2:3]
	global_store_dwordx2 v[4:5], v[6:7], off
.LBB8_1887:
	s_andn2_b32 vcc_lo, exec_lo, s5
	s_cbranch_vccnz .LBB8_1889
; %bb.1888:
	v_cvt_i32_f64_e32 v2, v[0:1]
	global_store_dword v[4:5], v2, off
.LBB8_1889:
	s_mov_b32 s5, 0
.LBB8_1890:
	s_andn2_b32 vcc_lo, exec_lo, s5
	s_cbranch_vccnz .LBB8_1892
; %bb.1891:
	v_cvt_i32_f64_e32 v2, v[0:1]
	global_store_short v[4:5], v2, off
.LBB8_1892:
	s_mov_b32 s5, 0
.LBB8_1893:
	s_andn2_b32 vcc_lo, exec_lo, s5
	s_cbranch_vccnz .LBB8_1898
; %bb.1894:
	s_cmp_gt_i32 s4, 0
	s_mov_b32 s4, -1
	s_cbranch_scc0 .LBB8_1896
; %bb.1895:
	v_cvt_i32_f64_e32 v2, v[0:1]
	s_mov_b32 s4, 0
	global_store_byte v[4:5], v2, off
.LBB8_1896:
	s_andn2_b32 vcc_lo, exec_lo, s4
	s_cbranch_vccnz .LBB8_1898
; %bb.1897:
	v_trunc_f64_e32 v[0:1], v[0:1]
	v_ldexp_f64 v[2:3], v[0:1], 0xffffffe0
	v_floor_f64_e32 v[2:3], v[2:3]
	v_fma_f64 v[0:1], 0xc1f00000, v[2:3], v[0:1]
	v_cvt_u32_f64_e32 v0, v[0:1]
	global_store_byte v[4:5], v0, off
.LBB8_1898:
	s_mov_b32 s7, -1
.LBB8_1899:
	s_andn2_b32 vcc_lo, exec_lo, s7
	s_cbranch_vccnz .LBB8_2095
; %bb.1900:
	v_mov_b32_e32 v0, v42
	v_mov_b32_e32 v1, v43
	s_getpc_b64 s[4:5]
	s_add_u32 s4, s4, _ZZZZN2at6native12_GLOBAL__N_121bessel_j1_kernel_cudaERNS_18TensorIteratorBaseEENKUlvE_clEvENKUlvE_clEvENKUldE_clEd@rel32@lo+4
	s_addc_u32 s5, s5, _ZZZZN2at6native12_GLOBAL__N_121bessel_j1_kernel_cudaERNS_18TensorIteratorBaseEENKUlvE_clEvENKUlvE_clEvENKUldE_clEd@rel32@hi+12
	s_swappc_b64 s[30:31], s[4:5]
	v_add_co_u32 v4, s4, s28, v56
	v_add_co_ci_u32_e64 v5, null, s29, 0, s4
	s_cmp_lt_i32 s36, 11
	s_cbranch_scc1 .LBB8_1978
; %bb.1901:
	s_and_b32 s5, 0xffff, s36
	s_mov_b32 s8, -1
	s_mov_b32 s6, 0
	s_cmp_gt_i32 s5, 25
	s_mov_b32 s7, 0
	s_mov_b32 s4, 0
	s_cbranch_scc0 .LBB8_1934
; %bb.1902:
	s_cmp_gt_i32 s5, 28
	s_cbranch_scc0 .LBB8_1917
; %bb.1903:
	s_cmp_gt_i32 s5, 43
	;; [unrolled: 3-line block ×3, first 2 shown]
	s_cbranch_scc0 .LBB8_1907
; %bb.1905:
	s_mov_b32 s4, -1
	s_mov_b32 s8, 0
	s_cmp_eq_u32 s5, 46
	s_cbranch_scc0 .LBB8_1907
; %bb.1906:
	v_cvt_f32_f64_e32 v2, v[0:1]
	s_mov_b32 s4, 0
	s_mov_b32 s7, -1
	v_bfe_u32 v3, v2, 16, 1
	v_cmp_o_f32_e32 vcc_lo, v2, v2
	v_add3_u32 v2, v2, v3, 0x7fff
	v_mov_b32_e32 v3, 0x7fc0
	v_cndmask_b32_sdwa v2, v3, v2, vcc_lo dst_sel:DWORD dst_unused:UNUSED_PAD src0_sel:DWORD src1_sel:WORD_1
	global_store_dword v[4:5], v2, off
.LBB8_1907:
	s_and_b32 vcc_lo, exec_lo, s8
	s_cbranch_vccz .LBB8_1912
; %bb.1908:
	s_cmp_eq_u32 s5, 44
	s_mov_b32 s4, -1
	s_cbranch_scc0 .LBB8_1912
; %bb.1909:
	v_cvt_f32_f64_e32 v2, v[0:1]
	v_mov_b32_e32 v3, 0xff
	s_mov_b32 s7, exec_lo
	v_bfe_u32 v6, v2, 23, 8
	v_cmpx_ne_u32_e32 0xff, v6
	s_cbranch_execz .LBB8_1911
; %bb.1910:
	v_and_b32_e32 v3, 0x400000, v2
	v_and_or_b32 v6, 0x3fffff, v2, v6
	v_lshrrev_b32_e32 v2, 23, v2
	v_cmp_ne_u32_e32 vcc_lo, 0, v3
	v_cmp_ne_u32_e64 s4, 0, v6
	s_and_b32 s4, vcc_lo, s4
	v_cndmask_b32_e64 v3, 0, 1, s4
	v_add_nc_u32_e32 v3, v2, v3
.LBB8_1911:
	s_or_b32 exec_lo, exec_lo, s7
	s_mov_b32 s4, 0
	s_mov_b32 s7, -1
	global_store_byte v[4:5], v3, off
.LBB8_1912:
	s_mov_b32 s8, 0
.LBB8_1913:
	s_and_b32 vcc_lo, exec_lo, s8
	s_cbranch_vccz .LBB8_1916
; %bb.1914:
	s_cmp_eq_u32 s5, 29
	s_mov_b32 s4, -1
	s_cbranch_scc0 .LBB8_1916
; %bb.1915:
	v_trunc_f64_e32 v[2:3], v[0:1]
	s_mov_b32 s4, 0
	s_mov_b32 s7, -1
	v_ldexp_f64 v[6:7], v[2:3], 0xffffffe0
	v_floor_f64_e32 v[6:7], v[6:7]
	v_fma_f64 v[2:3], 0xc1f00000, v[6:7], v[2:3]
	v_cvt_u32_f64_e32 v7, v[6:7]
	v_cvt_u32_f64_e32 v6, v[2:3]
	global_store_dwordx2 v[4:5], v[6:7], off
.LBB8_1916:
	s_mov_b32 s8, 0
.LBB8_1917:
	s_and_b32 vcc_lo, exec_lo, s8
	s_cbranch_vccz .LBB8_1933
; %bb.1918:
	s_cmp_lt_i32 s5, 27
	s_mov_b32 s7, -1
	s_cbranch_scc1 .LBB8_1924
; %bb.1919:
	v_cvt_u32_f64_e32 v2, v[0:1]
	s_cmp_gt_i32 s5, 27
	s_cbranch_scc0 .LBB8_1921
; %bb.1920:
	s_mov_b32 s7, 0
	global_store_dword v[4:5], v2, off
.LBB8_1921:
	s_andn2_b32 vcc_lo, exec_lo, s7
	s_cbranch_vccnz .LBB8_1923
; %bb.1922:
	global_store_short v[4:5], v2, off
.LBB8_1923:
	s_mov_b32 s7, 0
.LBB8_1924:
	s_andn2_b32 vcc_lo, exec_lo, s7
	s_cbranch_vccnz .LBB8_1932
; %bb.1925:
	v_cvt_f32_f64_e32 v2, v[0:1]
	v_mov_b32_e32 v6, 0x80
	s_mov_b32 s7, exec_lo
	v_and_b32_e32 v3, 0x7fffffff, v2
	v_cmpx_gt_u32_e32 0x43800000, v3
	s_cbranch_execz .LBB8_1931
; %bb.1926:
	v_cmp_lt_u32_e32 vcc_lo, 0x3bffffff, v3
	s_mov_b32 s8, 0
                                        ; implicit-def: $vgpr3
	s_and_saveexec_b32 s9, vcc_lo
	s_xor_b32 s9, exec_lo, s9
	s_cbranch_execz .LBB8_2152
; %bb.1927:
	v_bfe_u32 v3, v2, 20, 1
	s_mov_b32 s8, exec_lo
	v_add3_u32 v3, v2, v3, 0x487ffff
	v_lshrrev_b32_e32 v3, 20, v3
	s_andn2_saveexec_b32 s9, s9
	s_cbranch_execnz .LBB8_2153
.LBB8_1928:
	s_or_b32 exec_lo, exec_lo, s9
	v_mov_b32_e32 v6, 0
	s_and_saveexec_b32 s9, s8
.LBB8_1929:
	v_lshrrev_b32_e32 v2, 24, v2
	v_and_or_b32 v6, 0x80, v2, v3
.LBB8_1930:
	s_or_b32 exec_lo, exec_lo, s9
.LBB8_1931:
	s_or_b32 exec_lo, exec_lo, s7
	global_store_byte v[4:5], v6, off
.LBB8_1932:
	s_mov_b32 s7, -1
.LBB8_1933:
	s_mov_b32 s8, 0
.LBB8_1934:
	s_and_b32 vcc_lo, exec_lo, s8
	s_cbranch_vccz .LBB8_1974
; %bb.1935:
	s_cmp_gt_i32 s5, 22
	s_mov_b32 s6, -1
	s_cbranch_scc0 .LBB8_1967
; %bb.1936:
	s_cmp_lt_i32 s5, 24
	s_cbranch_scc1 .LBB8_1956
; %bb.1937:
	s_cmp_gt_i32 s5, 24
	s_cbranch_scc0 .LBB8_1945
; %bb.1938:
	v_cvt_f32_f64_e32 v2, v[0:1]
	v_mov_b32_e32 v6, 0x80
	s_mov_b32 s6, exec_lo
	v_and_b32_e32 v3, 0x7fffffff, v2
	v_cmpx_gt_u32_e32 0x47800000, v3
	s_cbranch_execz .LBB8_1944
; %bb.1939:
	v_cmp_lt_u32_e32 vcc_lo, 0x37ffffff, v3
	s_mov_b32 s7, 0
                                        ; implicit-def: $vgpr3
	s_and_saveexec_b32 s8, vcc_lo
	s_xor_b32 s8, exec_lo, s8
	s_cbranch_execz .LBB8_2155
; %bb.1940:
	v_bfe_u32 v3, v2, 21, 1
	s_mov_b32 s7, exec_lo
	v_add3_u32 v3, v2, v3, 0x88fffff
	v_lshrrev_b32_e32 v3, 21, v3
	s_andn2_saveexec_b32 s8, s8
	s_cbranch_execnz .LBB8_2156
.LBB8_1941:
	s_or_b32 exec_lo, exec_lo, s8
	v_mov_b32_e32 v6, 0
	s_and_saveexec_b32 s8, s7
.LBB8_1942:
	v_lshrrev_b32_e32 v2, 24, v2
	v_and_or_b32 v6, 0x80, v2, v3
.LBB8_1943:
	s_or_b32 exec_lo, exec_lo, s8
.LBB8_1944:
	s_or_b32 exec_lo, exec_lo, s6
	s_mov_b32 s6, 0
	global_store_byte v[4:5], v6, off
.LBB8_1945:
	s_and_b32 vcc_lo, exec_lo, s6
	s_cbranch_vccz .LBB8_1955
; %bb.1946:
	v_cvt_f32_f64_e32 v2, v[0:1]
	s_mov_b32 s6, exec_lo
                                        ; implicit-def: $vgpr3
	v_and_b32_e32 v6, 0x7fffffff, v2
	v_cmpx_gt_u32_e32 0x43f00000, v6
	s_xor_b32 s6, exec_lo, s6
	s_cbranch_execz .LBB8_1952
; %bb.1947:
	s_mov_b32 s7, exec_lo
                                        ; implicit-def: $vgpr3
	v_cmpx_lt_u32_e32 0x3c7fffff, v6
	s_xor_b32 s7, exec_lo, s7
; %bb.1948:
	v_bfe_u32 v3, v2, 20, 1
	v_add3_u32 v3, v2, v3, 0x407ffff
	v_and_b32_e32 v6, 0xff00000, v3
	v_lshrrev_b32_e32 v3, 20, v3
	v_cmp_ne_u32_e32 vcc_lo, 0x7f00000, v6
	v_cndmask_b32_e32 v3, 0x7e, v3, vcc_lo
; %bb.1949:
	s_andn2_saveexec_b32 s7, s7
; %bb.1950:
	v_add_f32_e64 v3, 0x46800000, |v2|
; %bb.1951:
	s_or_b32 exec_lo, exec_lo, s7
                                        ; implicit-def: $vgpr6
.LBB8_1952:
	s_andn2_saveexec_b32 s6, s6
; %bb.1953:
	v_mov_b32_e32 v3, 0x7f
	v_cmp_lt_u32_e32 vcc_lo, 0x7f800000, v6
	v_cndmask_b32_e32 v3, 0x7e, v3, vcc_lo
; %bb.1954:
	s_or_b32 exec_lo, exec_lo, s6
	v_lshrrev_b32_e32 v2, 24, v2
	v_and_or_b32 v2, 0x80, v2, v3
	global_store_byte v[4:5], v2, off
.LBB8_1955:
	s_mov_b32 s6, 0
.LBB8_1956:
	s_andn2_b32 vcc_lo, exec_lo, s6
	s_cbranch_vccnz .LBB8_1966
; %bb.1957:
	v_cvt_f32_f64_e32 v2, v[0:1]
	s_mov_b32 s6, exec_lo
                                        ; implicit-def: $vgpr3
	v_and_b32_e32 v6, 0x7fffffff, v2
	v_cmpx_gt_u32_e32 0x47800000, v6
	s_xor_b32 s6, exec_lo, s6
	s_cbranch_execz .LBB8_1963
; %bb.1958:
	s_mov_b32 s7, exec_lo
                                        ; implicit-def: $vgpr3
	v_cmpx_lt_u32_e32 0x387fffff, v6
	s_xor_b32 s7, exec_lo, s7
; %bb.1959:
	v_bfe_u32 v3, v2, 21, 1
	v_add3_u32 v3, v2, v3, 0x80fffff
	v_lshrrev_b32_e32 v3, 21, v3
; %bb.1960:
	s_andn2_saveexec_b32 s7, s7
; %bb.1961:
	v_add_f32_e64 v3, 0x43000000, |v2|
; %bb.1962:
	s_or_b32 exec_lo, exec_lo, s7
                                        ; implicit-def: $vgpr6
.LBB8_1963:
	s_andn2_saveexec_b32 s6, s6
; %bb.1964:
	v_mov_b32_e32 v3, 0x7f
	v_cmp_lt_u32_e32 vcc_lo, 0x7f800000, v6
	v_cndmask_b32_e32 v3, 0x7c, v3, vcc_lo
; %bb.1965:
	s_or_b32 exec_lo, exec_lo, s6
	v_lshrrev_b32_e32 v2, 24, v2
	v_and_or_b32 v2, 0x80, v2, v3
	global_store_byte v[4:5], v2, off
.LBB8_1966:
	s_mov_b32 s6, 0
	s_mov_b32 s7, -1
.LBB8_1967:
	s_andn2_b32 vcc_lo, exec_lo, s6
	s_mov_b32 s6, 0
	s_cbranch_vccnz .LBB8_1974
; %bb.1968:
	s_cmp_gt_i32 s5, 14
	s_mov_b32 s6, -1
	s_cbranch_scc0 .LBB8_1972
; %bb.1969:
	s_cmp_eq_u32 s5, 15
	s_mov_b32 s4, -1
	s_cbranch_scc0 .LBB8_1971
; %bb.1970:
	v_cvt_f32_f64_e32 v2, v[0:1]
	s_mov_b32 s4, 0
	s_mov_b32 s7, -1
	v_bfe_u32 v3, v2, 16, 1
	v_cmp_o_f32_e32 vcc_lo, v2, v2
	v_add3_u32 v2, v2, v3, 0x7fff
	v_mov_b32_e32 v3, 0x7fc0
	v_cndmask_b32_sdwa v2, v3, v2, vcc_lo dst_sel:DWORD dst_unused:UNUSED_PAD src0_sel:DWORD src1_sel:WORD_1
	global_store_short v[4:5], v2, off
.LBB8_1971:
	s_mov_b32 s6, 0
.LBB8_1972:
	s_and_b32 vcc_lo, exec_lo, s6
	s_mov_b32 s6, 0
	s_cbranch_vccz .LBB8_1974
; %bb.1973:
	s_cmp_lg_u32 s5, 11
	s_mov_b32 s6, -1
	s_cselect_b32 s4, -1, 0
.LBB8_1974:
	s_and_b32 vcc_lo, exec_lo, s4
	s_cbranch_vccnz .LBB8_2154
; %bb.1975:
	s_andn2_b32 vcc_lo, exec_lo, s6
	s_cbranch_vccnz .LBB8_1977
.LBB8_1976:
	v_cmp_neq_f64_e32 vcc_lo, 0, v[0:1]
	s_mov_b32 s7, -1
	v_cndmask_b32_e64 v2, 0, 1, vcc_lo
	global_store_byte v[4:5], v2, off
.LBB8_1977:
	s_mov_b32 s4, 0
	s_branch .LBB8_1979
.LBB8_1978:
	s_mov_b32 s4, -1
	s_mov_b32 s7, 0
.LBB8_1979:
	s_and_b32 vcc_lo, exec_lo, s4
	s_cbranch_vccz .LBB8_2018
; %bb.1980:
	s_and_b32 s4, 0xffff, s36
	s_mov_b32 s5, -1
	s_cmp_lt_i32 s4, 5
	s_cbranch_scc1 .LBB8_2001
; %bb.1981:
	s_cmp_lt_i32 s4, 8
	s_cbranch_scc1 .LBB8_1991
; %bb.1982:
	;; [unrolled: 3-line block ×3, first 2 shown]
	s_cmp_gt_i32 s4, 9
	s_cbranch_scc0 .LBB8_1985
; %bb.1984:
	v_mov_b32_e32 v2, 0
	s_mov_b32 s5, 0
	v_mov_b32_e32 v3, v2
	global_store_dwordx4 v[4:5], v[0:3], off
.LBB8_1985:
	s_andn2_b32 vcc_lo, exec_lo, s5
	s_cbranch_vccnz .LBB8_1987
; %bb.1986:
	v_cvt_f32_f64_e32 v2, v[0:1]
	v_mov_b32_e32 v3, 0
	global_store_dwordx2 v[4:5], v[2:3], off
.LBB8_1987:
	s_mov_b32 s5, 0
.LBB8_1988:
	s_andn2_b32 vcc_lo, exec_lo, s5
	s_cbranch_vccnz .LBB8_1990
; %bb.1989:
	v_and_or_b32 v2, 0x1ff, v1, v0
	v_lshrrev_b32_e32 v3, 8, v1
	v_bfe_u32 v6, v1, 20, 11
	v_cmp_ne_u32_e32 vcc_lo, 0, v2
	v_sub_nc_u32_e32 v7, 0x3f1, v6
	v_add_nc_u32_e32 v6, 0xfffffc10, v6
	v_cndmask_b32_e64 v2, 0, 1, vcc_lo
	v_and_or_b32 v2, 0xffe, v3, v2
	v_med3_i32 v3, v7, 0, 13
	v_or_b32_e32 v7, 0x1000, v2
	v_lshrrev_b32_e32 v8, v3, v7
	v_lshlrev_b32_e32 v3, v3, v8
	v_cmp_ne_u32_e32 vcc_lo, v3, v7
	v_lshl_or_b32 v7, v6, 12, v2
	v_cndmask_b32_e64 v3, 0, 1, vcc_lo
	v_cmp_gt_i32_e32 vcc_lo, 1, v6
	v_or_b32_e32 v3, v8, v3
	v_cndmask_b32_e32 v3, v7, v3, vcc_lo
	v_and_b32_e32 v7, 7, v3
	v_lshrrev_b32_e32 v3, 2, v3
	v_cmp_lt_i32_e32 vcc_lo, 5, v7
	v_cndmask_b32_e64 v8, 0, 1, vcc_lo
	v_cmp_eq_u32_e32 vcc_lo, 3, v7
	v_cndmask_b32_e64 v7, 0, 1, vcc_lo
	v_cmp_ne_u32_e32 vcc_lo, 0, v2
	v_or_b32_e32 v7, v7, v8
	v_mov_b32_e32 v8, 0x7e00
	v_add_nc_u32_e32 v3, v3, v7
	v_cndmask_b32_e32 v2, 0x7c00, v8, vcc_lo
	v_cmp_gt_i32_e32 vcc_lo, 31, v6
	v_cndmask_b32_e32 v3, 0x7c00, v3, vcc_lo
	v_cmp_eq_u32_e32 vcc_lo, 0x40f, v6
	v_cndmask_b32_e32 v2, v3, v2, vcc_lo
	v_lshrrev_b32_e32 v3, 16, v1
	v_and_or_b32 v2, 0x8000, v3, v2
	v_and_b32_e32 v2, 0xffff, v2
	global_store_dword v[4:5], v2, off
.LBB8_1990:
	s_mov_b32 s5, 0
.LBB8_1991:
	s_andn2_b32 vcc_lo, exec_lo, s5
	s_cbranch_vccnz .LBB8_2000
; %bb.1992:
	s_cmp_lt_i32 s4, 6
	s_mov_b32 s5, -1
	s_cbranch_scc1 .LBB8_1998
; %bb.1993:
	s_cmp_gt_i32 s4, 6
	s_cbranch_scc0 .LBB8_1995
; %bb.1994:
	s_mov_b32 s5, 0
	global_store_dwordx2 v[4:5], v[0:1], off
.LBB8_1995:
	s_andn2_b32 vcc_lo, exec_lo, s5
	s_cbranch_vccnz .LBB8_1997
; %bb.1996:
	v_cvt_f32_f64_e32 v2, v[0:1]
	global_store_dword v[4:5], v2, off
.LBB8_1997:
	s_mov_b32 s5, 0
.LBB8_1998:
	s_andn2_b32 vcc_lo, exec_lo, s5
	s_cbranch_vccnz .LBB8_2000
; %bb.1999:
	v_and_or_b32 v2, 0x1ff, v1, v0
	v_lshrrev_b32_e32 v3, 8, v1
	v_bfe_u32 v6, v1, 20, 11
	v_cmp_ne_u32_e32 vcc_lo, 0, v2
	v_sub_nc_u32_e32 v7, 0x3f1, v6
	v_add_nc_u32_e32 v6, 0xfffffc10, v6
	v_cndmask_b32_e64 v2, 0, 1, vcc_lo
	v_and_or_b32 v2, 0xffe, v3, v2
	v_med3_i32 v3, v7, 0, 13
	v_or_b32_e32 v7, 0x1000, v2
	v_lshrrev_b32_e32 v8, v3, v7
	v_lshlrev_b32_e32 v3, v3, v8
	v_cmp_ne_u32_e32 vcc_lo, v3, v7
	v_lshl_or_b32 v7, v6, 12, v2
	v_cndmask_b32_e64 v3, 0, 1, vcc_lo
	v_cmp_gt_i32_e32 vcc_lo, 1, v6
	v_or_b32_e32 v3, v8, v3
	v_cndmask_b32_e32 v3, v7, v3, vcc_lo
	v_and_b32_e32 v7, 7, v3
	v_lshrrev_b32_e32 v3, 2, v3
	v_cmp_lt_i32_e32 vcc_lo, 5, v7
	v_cndmask_b32_e64 v8, 0, 1, vcc_lo
	v_cmp_eq_u32_e32 vcc_lo, 3, v7
	v_cndmask_b32_e64 v7, 0, 1, vcc_lo
	v_cmp_ne_u32_e32 vcc_lo, 0, v2
	v_or_b32_e32 v7, v7, v8
	v_mov_b32_e32 v8, 0x7e00
	v_add_nc_u32_e32 v3, v3, v7
	v_cndmask_b32_e32 v2, 0x7c00, v8, vcc_lo
	v_cmp_gt_i32_e32 vcc_lo, 31, v6
	v_cndmask_b32_e32 v3, 0x7c00, v3, vcc_lo
	v_cmp_eq_u32_e32 vcc_lo, 0x40f, v6
	v_cndmask_b32_e32 v2, v3, v2, vcc_lo
	v_lshrrev_b32_e32 v3, 16, v1
	v_and_or_b32 v2, 0x8000, v3, v2
	global_store_short v[4:5], v2, off
.LBB8_2000:
	s_mov_b32 s5, 0
.LBB8_2001:
	s_andn2_b32 vcc_lo, exec_lo, s5
	s_cbranch_vccnz .LBB8_2017
; %bb.2002:
	s_cmp_lt_i32 s4, 2
	s_mov_b32 s5, -1
	s_cbranch_scc1 .LBB8_2012
; %bb.2003:
	s_cmp_lt_i32 s4, 3
	s_cbranch_scc1 .LBB8_2009
; %bb.2004:
	s_cmp_gt_i32 s4, 3
	s_cbranch_scc0 .LBB8_2006
; %bb.2005:
	v_trunc_f64_e32 v[2:3], v[0:1]
	s_mov_b32 s5, 0
	v_ldexp_f64 v[6:7], v[2:3], 0xffffffe0
	v_floor_f64_e32 v[6:7], v[6:7]
	v_fma_f64 v[2:3], 0xc1f00000, v[6:7], v[2:3]
	v_cvt_i32_f64_e32 v7, v[6:7]
	v_cvt_u32_f64_e32 v6, v[2:3]
	global_store_dwordx2 v[4:5], v[6:7], off
.LBB8_2006:
	s_andn2_b32 vcc_lo, exec_lo, s5
	s_cbranch_vccnz .LBB8_2008
; %bb.2007:
	v_cvt_i32_f64_e32 v2, v[0:1]
	global_store_dword v[4:5], v2, off
.LBB8_2008:
	s_mov_b32 s5, 0
.LBB8_2009:
	s_andn2_b32 vcc_lo, exec_lo, s5
	s_cbranch_vccnz .LBB8_2011
; %bb.2010:
	v_cvt_i32_f64_e32 v2, v[0:1]
	global_store_short v[4:5], v2, off
.LBB8_2011:
	s_mov_b32 s5, 0
.LBB8_2012:
	s_andn2_b32 vcc_lo, exec_lo, s5
	s_cbranch_vccnz .LBB8_2017
; %bb.2013:
	s_cmp_gt_i32 s4, 0
	s_mov_b32 s4, -1
	s_cbranch_scc0 .LBB8_2015
; %bb.2014:
	v_cvt_i32_f64_e32 v2, v[0:1]
	s_mov_b32 s4, 0
	global_store_byte v[4:5], v2, off
.LBB8_2015:
	s_andn2_b32 vcc_lo, exec_lo, s4
	s_cbranch_vccnz .LBB8_2017
; %bb.2016:
	v_trunc_f64_e32 v[0:1], v[0:1]
	v_ldexp_f64 v[2:3], v[0:1], 0xffffffe0
	v_floor_f64_e32 v[2:3], v[2:3]
	v_fma_f64 v[0:1], 0xc1f00000, v[2:3], v[0:1]
	v_cvt_u32_f64_e32 v0, v[0:1]
	global_store_byte v[4:5], v0, off
.LBB8_2017:
	s_mov_b32 s7, -1
.LBB8_2018:
	s_andn2_b32 vcc_lo, exec_lo, s7
	s_cbranch_vccnz .LBB8_2095
; %bb.2019:
	v_mov_b32_e32 v0, v40
	v_mov_b32_e32 v1, v41
	s_getpc_b64 s[4:5]
	s_add_u32 s4, s4, _ZZZZN2at6native12_GLOBAL__N_121bessel_j1_kernel_cudaERNS_18TensorIteratorBaseEENKUlvE_clEvENKUlvE_clEvENKUldE_clEd@rel32@lo+4
	s_addc_u32 s5, s5, _ZZZZN2at6native12_GLOBAL__N_121bessel_j1_kernel_cudaERNS_18TensorIteratorBaseEENKUlvE_clEvENKUlvE_clEvENKUldE_clEd@rel32@hi+12
	s_swappc_b64 s[30:31], s[4:5]
	v_add_co_u32 v4, s4, s28, v46
	v_add_co_ci_u32_e64 v5, null, s29, 0, s4
	s_cmp_lt_i32 s36, 11
	s_cbranch_scc1 .LBB8_2140
; %bb.2020:
	s_and_b32 s5, 0xffff, s36
	s_mov_b32 s7, -1
	s_mov_b32 s6, 0
	s_cmp_gt_i32 s5, 25
	s_mov_b32 s4, 0
	s_cbranch_scc0 .LBB8_2053
; %bb.2021:
	s_cmp_gt_i32 s5, 28
	s_cbranch_scc0 .LBB8_2037
; %bb.2022:
	s_cmp_gt_i32 s5, 43
	s_cbranch_scc0 .LBB8_2033
; %bb.2023:
	s_cmp_gt_i32 s5, 45
	s_cbranch_scc0 .LBB8_2027
; %bb.2024:
	s_cmp_eq_u32 s5, 46
	s_mov_b32 s4, -1
	s_cbranch_scc0 .LBB8_2026
; %bb.2025:
	v_cvt_f32_f64_e32 v2, v[0:1]
	s_mov_b32 s4, 0
	v_bfe_u32 v3, v2, 16, 1
	v_cmp_o_f32_e32 vcc_lo, v2, v2
	v_add3_u32 v2, v2, v3, 0x7fff
	v_mov_b32_e32 v3, 0x7fc0
	v_cndmask_b32_sdwa v2, v3, v2, vcc_lo dst_sel:DWORD dst_unused:UNUSED_PAD src0_sel:DWORD src1_sel:WORD_1
	global_store_dword v[4:5], v2, off
.LBB8_2026:
	s_mov_b32 s7, 0
.LBB8_2027:
	s_and_b32 vcc_lo, exec_lo, s7
	s_cbranch_vccz .LBB8_2032
; %bb.2028:
	s_cmp_eq_u32 s5, 44
	s_mov_b32 s4, -1
	s_cbranch_scc0 .LBB8_2032
; %bb.2029:
	v_cvt_f32_f64_e32 v2, v[0:1]
	v_mov_b32_e32 v3, 0xff
	s_mov_b32 s7, exec_lo
	v_bfe_u32 v6, v2, 23, 8
	v_cmpx_ne_u32_e32 0xff, v6
	s_cbranch_execz .LBB8_2031
; %bb.2030:
	v_and_b32_e32 v3, 0x400000, v2
	v_and_or_b32 v6, 0x3fffff, v2, v6
	v_lshrrev_b32_e32 v2, 23, v2
	v_cmp_ne_u32_e32 vcc_lo, 0, v3
	v_cmp_ne_u32_e64 s4, 0, v6
	s_and_b32 s4, vcc_lo, s4
	v_cndmask_b32_e64 v3, 0, 1, s4
	v_add_nc_u32_e32 v3, v2, v3
.LBB8_2031:
	s_or_b32 exec_lo, exec_lo, s7
	s_mov_b32 s4, 0
	global_store_byte v[4:5], v3, off
.LBB8_2032:
	s_mov_b32 s7, 0
.LBB8_2033:
	s_and_b32 vcc_lo, exec_lo, s7
	s_cbranch_vccz .LBB8_2036
; %bb.2034:
	s_cmp_eq_u32 s5, 29
	s_mov_b32 s4, -1
	s_cbranch_scc0 .LBB8_2036
; %bb.2035:
	v_trunc_f64_e32 v[2:3], v[0:1]
	s_mov_b32 s4, 0
	v_ldexp_f64 v[6:7], v[2:3], 0xffffffe0
	v_floor_f64_e32 v[6:7], v[6:7]
	v_fma_f64 v[2:3], 0xc1f00000, v[6:7], v[2:3]
	v_cvt_u32_f64_e32 v7, v[6:7]
	v_cvt_u32_f64_e32 v6, v[2:3]
	global_store_dwordx2 v[4:5], v[6:7], off
.LBB8_2036:
	s_mov_b32 s7, 0
.LBB8_2037:
	s_and_b32 vcc_lo, exec_lo, s7
	s_cbranch_vccz .LBB8_2052
; %bb.2038:
	s_cmp_lt_i32 s5, 27
	s_mov_b32 s7, -1
	s_cbranch_scc1 .LBB8_2044
; %bb.2039:
	s_cmp_gt_i32 s5, 27
	s_cbranch_scc0 .LBB8_2041
; %bb.2040:
	v_cvt_u32_f64_e32 v2, v[0:1]
	s_mov_b32 s7, 0
	global_store_dword v[4:5], v2, off
.LBB8_2041:
	s_andn2_b32 vcc_lo, exec_lo, s7
	s_cbranch_vccnz .LBB8_2043
; %bb.2042:
	v_cvt_u32_f64_e32 v2, v[0:1]
	global_store_short v[4:5], v2, off
.LBB8_2043:
	s_mov_b32 s7, 0
.LBB8_2044:
	s_andn2_b32 vcc_lo, exec_lo, s7
	s_cbranch_vccnz .LBB8_2052
; %bb.2045:
	v_cvt_f32_f64_e32 v2, v[0:1]
	v_mov_b32_e32 v6, 0x80
	s_mov_b32 s7, exec_lo
	v_and_b32_e32 v3, 0x7fffffff, v2
	v_cmpx_gt_u32_e32 0x43800000, v3
	s_cbranch_execz .LBB8_2051
; %bb.2046:
	v_cmp_lt_u32_e32 vcc_lo, 0x3bffffff, v3
	s_mov_b32 s8, 0
                                        ; implicit-def: $vgpr3
	s_and_saveexec_b32 s9, vcc_lo
	s_xor_b32 s9, exec_lo, s9
	s_cbranch_execz .LBB8_2157
; %bb.2047:
	v_bfe_u32 v3, v2, 20, 1
	s_mov_b32 s8, exec_lo
	v_add3_u32 v3, v2, v3, 0x487ffff
	v_lshrrev_b32_e32 v3, 20, v3
	s_andn2_saveexec_b32 s9, s9
	s_cbranch_execnz .LBB8_2158
.LBB8_2048:
	s_or_b32 exec_lo, exec_lo, s9
	v_mov_b32_e32 v6, 0
	s_and_saveexec_b32 s9, s8
.LBB8_2049:
	v_lshrrev_b32_e32 v2, 24, v2
	v_and_or_b32 v6, 0x80, v2, v3
.LBB8_2050:
	s_or_b32 exec_lo, exec_lo, s9
.LBB8_2051:
	s_or_b32 exec_lo, exec_lo, s7
	global_store_byte v[4:5], v6, off
.LBB8_2052:
	s_mov_b32 s7, 0
.LBB8_2053:
	s_and_b32 vcc_lo, exec_lo, s7
	s_cbranch_vccz .LBB8_2093
; %bb.2054:
	s_cmp_gt_i32 s5, 22
	s_mov_b32 s6, -1
	s_cbranch_scc0 .LBB8_2086
; %bb.2055:
	s_cmp_lt_i32 s5, 24
	s_cbranch_scc1 .LBB8_2075
; %bb.2056:
	s_cmp_gt_i32 s5, 24
	s_cbranch_scc0 .LBB8_2064
; %bb.2057:
	v_cvt_f32_f64_e32 v2, v[0:1]
	v_mov_b32_e32 v6, 0x80
	s_mov_b32 s6, exec_lo
	v_and_b32_e32 v3, 0x7fffffff, v2
	v_cmpx_gt_u32_e32 0x47800000, v3
	s_cbranch_execz .LBB8_2063
; %bb.2058:
	v_cmp_lt_u32_e32 vcc_lo, 0x37ffffff, v3
	s_mov_b32 s7, 0
                                        ; implicit-def: $vgpr3
	s_and_saveexec_b32 s8, vcc_lo
	s_xor_b32 s8, exec_lo, s8
	s_cbranch_execz .LBB8_2160
; %bb.2059:
	v_bfe_u32 v3, v2, 21, 1
	s_mov_b32 s7, exec_lo
	v_add3_u32 v3, v2, v3, 0x88fffff
	v_lshrrev_b32_e32 v3, 21, v3
	s_andn2_saveexec_b32 s8, s8
	s_cbranch_execnz .LBB8_2161
.LBB8_2060:
	s_or_b32 exec_lo, exec_lo, s8
	v_mov_b32_e32 v6, 0
	s_and_saveexec_b32 s8, s7
.LBB8_2061:
	v_lshrrev_b32_e32 v2, 24, v2
	v_and_or_b32 v6, 0x80, v2, v3
.LBB8_2062:
	s_or_b32 exec_lo, exec_lo, s8
.LBB8_2063:
	s_or_b32 exec_lo, exec_lo, s6
	s_mov_b32 s6, 0
	global_store_byte v[4:5], v6, off
.LBB8_2064:
	s_and_b32 vcc_lo, exec_lo, s6
	s_cbranch_vccz .LBB8_2074
; %bb.2065:
	v_cvt_f32_f64_e32 v2, v[0:1]
	s_mov_b32 s6, exec_lo
                                        ; implicit-def: $vgpr3
	v_and_b32_e32 v6, 0x7fffffff, v2
	v_cmpx_gt_u32_e32 0x43f00000, v6
	s_xor_b32 s6, exec_lo, s6
	s_cbranch_execz .LBB8_2071
; %bb.2066:
	s_mov_b32 s7, exec_lo
                                        ; implicit-def: $vgpr3
	v_cmpx_lt_u32_e32 0x3c7fffff, v6
	s_xor_b32 s7, exec_lo, s7
; %bb.2067:
	v_bfe_u32 v3, v2, 20, 1
	v_add3_u32 v3, v2, v3, 0x407ffff
	v_and_b32_e32 v6, 0xff00000, v3
	v_lshrrev_b32_e32 v3, 20, v3
	v_cmp_ne_u32_e32 vcc_lo, 0x7f00000, v6
	v_cndmask_b32_e32 v3, 0x7e, v3, vcc_lo
; %bb.2068:
	s_andn2_saveexec_b32 s7, s7
; %bb.2069:
	v_add_f32_e64 v3, 0x46800000, |v2|
; %bb.2070:
	s_or_b32 exec_lo, exec_lo, s7
                                        ; implicit-def: $vgpr6
.LBB8_2071:
	s_andn2_saveexec_b32 s6, s6
; %bb.2072:
	v_mov_b32_e32 v3, 0x7f
	v_cmp_lt_u32_e32 vcc_lo, 0x7f800000, v6
	v_cndmask_b32_e32 v3, 0x7e, v3, vcc_lo
; %bb.2073:
	s_or_b32 exec_lo, exec_lo, s6
	v_lshrrev_b32_e32 v2, 24, v2
	v_and_or_b32 v2, 0x80, v2, v3
	global_store_byte v[4:5], v2, off
.LBB8_2074:
	s_mov_b32 s6, 0
.LBB8_2075:
	s_andn2_b32 vcc_lo, exec_lo, s6
	s_cbranch_vccnz .LBB8_2085
; %bb.2076:
	v_cvt_f32_f64_e32 v2, v[0:1]
	s_mov_b32 s6, exec_lo
                                        ; implicit-def: $vgpr3
	v_and_b32_e32 v6, 0x7fffffff, v2
	v_cmpx_gt_u32_e32 0x47800000, v6
	s_xor_b32 s6, exec_lo, s6
	s_cbranch_execz .LBB8_2082
; %bb.2077:
	s_mov_b32 s7, exec_lo
                                        ; implicit-def: $vgpr3
	v_cmpx_lt_u32_e32 0x387fffff, v6
	s_xor_b32 s7, exec_lo, s7
; %bb.2078:
	v_bfe_u32 v3, v2, 21, 1
	v_add3_u32 v3, v2, v3, 0x80fffff
	v_lshrrev_b32_e32 v3, 21, v3
; %bb.2079:
	s_andn2_saveexec_b32 s7, s7
; %bb.2080:
	v_add_f32_e64 v3, 0x43000000, |v2|
; %bb.2081:
	s_or_b32 exec_lo, exec_lo, s7
                                        ; implicit-def: $vgpr6
.LBB8_2082:
	s_andn2_saveexec_b32 s6, s6
; %bb.2083:
	v_mov_b32_e32 v3, 0x7f
	v_cmp_lt_u32_e32 vcc_lo, 0x7f800000, v6
	v_cndmask_b32_e32 v3, 0x7c, v3, vcc_lo
; %bb.2084:
	s_or_b32 exec_lo, exec_lo, s6
	v_lshrrev_b32_e32 v2, 24, v2
	v_and_or_b32 v2, 0x80, v2, v3
	global_store_byte v[4:5], v2, off
.LBB8_2085:
	s_mov_b32 s6, 0
.LBB8_2086:
	s_andn2_b32 vcc_lo, exec_lo, s6
	s_mov_b32 s6, 0
	s_cbranch_vccnz .LBB8_2093
; %bb.2087:
	s_cmp_gt_i32 s5, 14
	s_mov_b32 s6, -1
	s_cbranch_scc0 .LBB8_2091
; %bb.2088:
	s_cmp_eq_u32 s5, 15
	s_mov_b32 s4, -1
	s_cbranch_scc0 .LBB8_2090
; %bb.2089:
	v_cvt_f32_f64_e32 v2, v[0:1]
	s_mov_b32 s4, 0
	v_bfe_u32 v3, v2, 16, 1
	v_cmp_o_f32_e32 vcc_lo, v2, v2
	v_add3_u32 v2, v2, v3, 0x7fff
	v_mov_b32_e32 v3, 0x7fc0
	v_cndmask_b32_sdwa v2, v3, v2, vcc_lo dst_sel:DWORD dst_unused:UNUSED_PAD src0_sel:DWORD src1_sel:WORD_1
	global_store_short v[4:5], v2, off
.LBB8_2090:
	s_mov_b32 s6, 0
.LBB8_2091:
	s_and_b32 vcc_lo, exec_lo, s6
	s_mov_b32 s6, 0
	s_cbranch_vccz .LBB8_2093
; %bb.2092:
	s_cmp_lg_u32 s5, 11
	s_mov_b32 s6, -1
	s_cselect_b32 s4, -1, 0
.LBB8_2093:
	s_and_b32 vcc_lo, exec_lo, s4
	s_cbranch_vccnz .LBB8_2159
.LBB8_2094:
	s_mov_b32 s4, 0
	s_branch .LBB8_2096
.LBB8_2095:
	s_mov_b32 s4, 0
	s_mov_b32 s6, 0
                                        ; implicit-def: $vgpr4_vgpr5
                                        ; implicit-def: $sgpr36
                                        ; implicit-def: $vgpr0_vgpr1
.LBB8_2096:
	s_andn2_b32 s5, s34, exec_lo
	s_and_b32 s7, s26, exec_lo
	s_and_b32 s4, s4, exec_lo
	;; [unrolled: 1-line block ×3, first 2 shown]
	s_or_b32 s34, s5, s7
.LBB8_2097:
	s_or_b32 exec_lo, exec_lo, s35
	s_and_saveexec_b32 s5, s34
	s_cbranch_execz .LBB8_2100
; %bb.2098:
	; divergent unreachable
	s_or_b32 exec_lo, exec_lo, s5
	s_and_saveexec_b32 s5, s51
	s_xor_b32 s5, exec_lo, s5
	s_cbranch_execnz .LBB8_2101
.LBB8_2099:
	s_or_b32 exec_lo, exec_lo, s5
	s_and_saveexec_b32 s5, s4
	s_cbranch_execnz .LBB8_2102
	s_branch .LBB8_2139
.LBB8_2100:
	s_or_b32 exec_lo, exec_lo, s5
	s_and_saveexec_b32 s5, s51
	s_xor_b32 s5, exec_lo, s5
	s_cbranch_execz .LBB8_2099
.LBB8_2101:
	s_waitcnt vmcnt(0)
	v_cmp_neq_f64_e32 vcc_lo, 0, v[0:1]
	v_cndmask_b32_e64 v2, 0, 1, vcc_lo
	global_store_byte v[4:5], v2, off
	s_or_b32 exec_lo, exec_lo, s5
	s_and_saveexec_b32 s5, s4
	s_cbranch_execz .LBB8_2139
.LBB8_2102:
	s_sext_i32_i16 s5, s36
	s_mov_b32 s4, -1
	s_cmp_lt_i32 s5, 5
	s_cbranch_scc1 .LBB8_2123
; %bb.2103:
	s_cmp_lt_i32 s5, 8
	s_cbranch_scc1 .LBB8_2113
; %bb.2104:
	;; [unrolled: 3-line block ×3, first 2 shown]
	s_cmp_gt_i32 s5, 9
	s_cbranch_scc0 .LBB8_2107
; %bb.2106:
	s_waitcnt vmcnt(0)
	v_mov_b32_e32 v2, 0
	s_mov_b32 s4, 0
	v_mov_b32_e32 v3, v2
	global_store_dwordx4 v[4:5], v[0:3], off
.LBB8_2107:
	s_andn2_b32 vcc_lo, exec_lo, s4
	s_cbranch_vccnz .LBB8_2109
; %bb.2108:
	s_waitcnt vmcnt(0)
	v_cvt_f32_f64_e32 v2, v[0:1]
	v_mov_b32_e32 v3, 0
	global_store_dwordx2 v[4:5], v[2:3], off
.LBB8_2109:
	s_mov_b32 s4, 0
.LBB8_2110:
	s_andn2_b32 vcc_lo, exec_lo, s4
	s_cbranch_vccnz .LBB8_2112
; %bb.2111:
	s_waitcnt vmcnt(0)
	v_and_or_b32 v2, 0x1ff, v1, v0
	v_lshrrev_b32_e32 v3, 8, v1
	v_bfe_u32 v6, v1, 20, 11
	v_cmp_ne_u32_e32 vcc_lo, 0, v2
	v_sub_nc_u32_e32 v7, 0x3f1, v6
	v_add_nc_u32_e32 v6, 0xfffffc10, v6
	v_cndmask_b32_e64 v2, 0, 1, vcc_lo
	v_and_or_b32 v2, 0xffe, v3, v2
	v_med3_i32 v3, v7, 0, 13
	v_or_b32_e32 v7, 0x1000, v2
	v_lshrrev_b32_e32 v8, v3, v7
	v_lshlrev_b32_e32 v3, v3, v8
	v_cmp_ne_u32_e32 vcc_lo, v3, v7
	v_lshl_or_b32 v7, v6, 12, v2
	v_cndmask_b32_e64 v3, 0, 1, vcc_lo
	v_cmp_gt_i32_e32 vcc_lo, 1, v6
	v_or_b32_e32 v3, v8, v3
	v_cndmask_b32_e32 v3, v7, v3, vcc_lo
	v_and_b32_e32 v7, 7, v3
	v_lshrrev_b32_e32 v3, 2, v3
	v_cmp_lt_i32_e32 vcc_lo, 5, v7
	v_cndmask_b32_e64 v8, 0, 1, vcc_lo
	v_cmp_eq_u32_e32 vcc_lo, 3, v7
	v_cndmask_b32_e64 v7, 0, 1, vcc_lo
	v_cmp_ne_u32_e32 vcc_lo, 0, v2
	v_or_b32_e32 v7, v7, v8
	v_mov_b32_e32 v8, 0x7e00
	v_add_nc_u32_e32 v3, v3, v7
	v_cndmask_b32_e32 v2, 0x7c00, v8, vcc_lo
	v_cmp_gt_i32_e32 vcc_lo, 31, v6
	v_cndmask_b32_e32 v3, 0x7c00, v3, vcc_lo
	v_cmp_eq_u32_e32 vcc_lo, 0x40f, v6
	v_cndmask_b32_e32 v2, v3, v2, vcc_lo
	v_lshrrev_b32_e32 v3, 16, v1
	v_and_or_b32 v2, 0x8000, v3, v2
	v_and_b32_e32 v2, 0xffff, v2
	global_store_dword v[4:5], v2, off
.LBB8_2112:
	s_mov_b32 s4, 0
.LBB8_2113:
	s_andn2_b32 vcc_lo, exec_lo, s4
	s_cbranch_vccnz .LBB8_2122
; %bb.2114:
	s_sext_i32_i16 s5, s36
	s_mov_b32 s4, -1
	s_cmp_lt_i32 s5, 6
	s_cbranch_scc1 .LBB8_2120
; %bb.2115:
	s_cmp_gt_i32 s5, 6
	s_cbranch_scc0 .LBB8_2117
; %bb.2116:
	s_mov_b32 s4, 0
	s_waitcnt vmcnt(0)
	global_store_dwordx2 v[4:5], v[0:1], off
.LBB8_2117:
	s_andn2_b32 vcc_lo, exec_lo, s4
	s_cbranch_vccnz .LBB8_2119
; %bb.2118:
	s_waitcnt vmcnt(0)
	v_cvt_f32_f64_e32 v2, v[0:1]
	global_store_dword v[4:5], v2, off
.LBB8_2119:
	s_mov_b32 s4, 0
.LBB8_2120:
	s_andn2_b32 vcc_lo, exec_lo, s4
	s_cbranch_vccnz .LBB8_2122
; %bb.2121:
	s_waitcnt vmcnt(0)
	v_and_or_b32 v2, 0x1ff, v1, v0
	v_lshrrev_b32_e32 v3, 8, v1
	v_bfe_u32 v6, v1, 20, 11
	v_cmp_ne_u32_e32 vcc_lo, 0, v2
	v_sub_nc_u32_e32 v7, 0x3f1, v6
	v_add_nc_u32_e32 v6, 0xfffffc10, v6
	v_cndmask_b32_e64 v2, 0, 1, vcc_lo
	v_and_or_b32 v2, 0xffe, v3, v2
	v_med3_i32 v3, v7, 0, 13
	v_or_b32_e32 v7, 0x1000, v2
	v_lshrrev_b32_e32 v8, v3, v7
	v_lshlrev_b32_e32 v3, v3, v8
	v_cmp_ne_u32_e32 vcc_lo, v3, v7
	v_lshl_or_b32 v7, v6, 12, v2
	v_cndmask_b32_e64 v3, 0, 1, vcc_lo
	v_cmp_gt_i32_e32 vcc_lo, 1, v6
	v_or_b32_e32 v3, v8, v3
	v_cndmask_b32_e32 v3, v7, v3, vcc_lo
	v_and_b32_e32 v7, 7, v3
	v_lshrrev_b32_e32 v3, 2, v3
	v_cmp_lt_i32_e32 vcc_lo, 5, v7
	v_cndmask_b32_e64 v8, 0, 1, vcc_lo
	v_cmp_eq_u32_e32 vcc_lo, 3, v7
	v_cndmask_b32_e64 v7, 0, 1, vcc_lo
	v_cmp_ne_u32_e32 vcc_lo, 0, v2
	v_or_b32_e32 v7, v7, v8
	v_mov_b32_e32 v8, 0x7e00
	v_add_nc_u32_e32 v3, v3, v7
	v_cndmask_b32_e32 v2, 0x7c00, v8, vcc_lo
	v_cmp_gt_i32_e32 vcc_lo, 31, v6
	v_cndmask_b32_e32 v3, 0x7c00, v3, vcc_lo
	v_cmp_eq_u32_e32 vcc_lo, 0x40f, v6
	v_cndmask_b32_e32 v2, v3, v2, vcc_lo
	v_lshrrev_b32_e32 v3, 16, v1
	v_and_or_b32 v2, 0x8000, v3, v2
	global_store_short v[4:5], v2, off
.LBB8_2122:
	s_mov_b32 s4, 0
.LBB8_2123:
	s_andn2_b32 vcc_lo, exec_lo, s4
	s_cbranch_vccnz .LBB8_2139
; %bb.2124:
	s_sext_i32_i16 s5, s36
	s_mov_b32 s4, -1
	s_cmp_lt_i32 s5, 2
	s_cbranch_scc1 .LBB8_2134
; %bb.2125:
	s_cmp_lt_i32 s5, 3
	s_cbranch_scc1 .LBB8_2131
; %bb.2126:
	s_cmp_gt_i32 s5, 3
	s_cbranch_scc0 .LBB8_2128
; %bb.2127:
	s_waitcnt vmcnt(0)
	v_trunc_f64_e32 v[2:3], v[0:1]
	s_mov_b32 s4, 0
	v_ldexp_f64 v[6:7], v[2:3], 0xffffffe0
	v_floor_f64_e32 v[6:7], v[6:7]
	v_fma_f64 v[2:3], 0xc1f00000, v[6:7], v[2:3]
	v_cvt_i32_f64_e32 v7, v[6:7]
	v_cvt_u32_f64_e32 v6, v[2:3]
	global_store_dwordx2 v[4:5], v[6:7], off
.LBB8_2128:
	s_andn2_b32 vcc_lo, exec_lo, s4
	s_cbranch_vccnz .LBB8_2130
; %bb.2129:
	s_waitcnt vmcnt(0)
	v_cvt_i32_f64_e32 v2, v[0:1]
	global_store_dword v[4:5], v2, off
.LBB8_2130:
	s_mov_b32 s4, 0
.LBB8_2131:
	s_andn2_b32 vcc_lo, exec_lo, s4
	s_cbranch_vccnz .LBB8_2133
; %bb.2132:
	s_waitcnt vmcnt(0)
	v_cvt_i32_f64_e32 v2, v[0:1]
	global_store_short v[4:5], v2, off
.LBB8_2133:
	s_mov_b32 s4, 0
.LBB8_2134:
	s_andn2_b32 vcc_lo, exec_lo, s4
	s_cbranch_vccnz .LBB8_2139
; %bb.2135:
	s_sext_i32_i16 s4, s36
	s_cmp_gt_i32 s4, 0
	s_mov_b32 s4, -1
	s_cbranch_scc0 .LBB8_2137
; %bb.2136:
	s_waitcnt vmcnt(0)
	v_cvt_i32_f64_e32 v2, v[0:1]
	s_mov_b32 s4, 0
	global_store_byte v[4:5], v2, off
.LBB8_2137:
	s_andn2_b32 vcc_lo, exec_lo, s4
	s_cbranch_vccnz .LBB8_2139
; %bb.2138:
	s_waitcnt vmcnt(0)
	v_trunc_f64_e32 v[0:1], v[0:1]
	v_ldexp_f64 v[2:3], v[0:1], 0xffffffe0
	v_floor_f64_e32 v[2:3], v[2:3]
	v_fma_f64 v[0:1], 0xc1f00000, v[2:3], v[0:1]
	v_cvt_u32_f64_e32 v0, v[0:1]
	global_store_byte v[4:5], v0, off
	s_endpgm
.LBB8_2139:
	s_endpgm
.LBB8_2140:
	s_mov_b32 s6, 0
	s_mov_b32 s4, -1
	s_branch .LBB8_2096
.LBB8_2141:
	s_or_b32 s26, s26, exec_lo
	s_trap 2
	s_cbranch_execz .LBB8_1610
	s_branch .LBB8_1611
.LBB8_2142:
	s_andn2_saveexec_b32 s9, s9
	s_cbranch_execz .LBB8_1690
.LBB8_2143:
	v_add_f32_e64 v3, 0x46000000, |v2|
	s_andn2_b32 s8, s8, exec_lo
	v_and_b32_e32 v3, 0xff, v3
	v_cmp_ne_u32_e32 vcc_lo, 0, v3
	s_and_b32 s10, vcc_lo, exec_lo
	s_or_b32 s8, s8, s10
	s_or_b32 exec_lo, exec_lo, s9
	v_mov_b32_e32 v6, 0
	s_and_saveexec_b32 s9, s8
	s_cbranch_execnz .LBB8_1691
	s_branch .LBB8_1692
.LBB8_2144:
	s_or_b32 s26, s26, exec_lo
	s_trap 2
	s_cbranch_execz .LBB8_1738
	s_branch .LBB8_1739
.LBB8_2145:
	s_andn2_saveexec_b32 s8, s8
	s_cbranch_execz .LBB8_1703
.LBB8_2146:
	v_add_f32_e64 v3, 0x42800000, |v2|
	s_andn2_b32 s7, s7, exec_lo
	v_and_b32_e32 v3, 0xff, v3
	v_cmp_ne_u32_e32 vcc_lo, 0, v3
	s_and_b32 s9, vcc_lo, exec_lo
	s_or_b32 s7, s7, s9
	s_or_b32 exec_lo, exec_lo, s8
	v_mov_b32_e32 v6, 0
	s_and_saveexec_b32 s8, s7
	s_cbranch_execnz .LBB8_1704
	s_branch .LBB8_1705
.LBB8_2147:
	s_andn2_saveexec_b32 s9, s9
	s_cbranch_execz .LBB8_1809
.LBB8_2148:
	v_add_f32_e64 v3, 0x46000000, |v2|
	s_andn2_b32 s8, s8, exec_lo
	v_and_b32_e32 v3, 0xff, v3
	v_cmp_ne_u32_e32 vcc_lo, 0, v3
	s_and_b32 s10, vcc_lo, exec_lo
	s_or_b32 s8, s8, s10
	s_or_b32 exec_lo, exec_lo, s9
	v_mov_b32_e32 v6, 0
	s_and_saveexec_b32 s9, s8
	s_cbranch_execnz .LBB8_1810
	s_branch .LBB8_1811
.LBB8_2149:
	s_or_b32 s26, s26, exec_lo
	s_trap 2
	s_cbranch_execz .LBB8_1857
	s_branch .LBB8_1858
.LBB8_2150:
	s_andn2_saveexec_b32 s8, s8
	s_cbranch_execz .LBB8_1822
.LBB8_2151:
	v_add_f32_e64 v3, 0x42800000, |v2|
	s_andn2_b32 s7, s7, exec_lo
	v_and_b32_e32 v3, 0xff, v3
	v_cmp_ne_u32_e32 vcc_lo, 0, v3
	s_and_b32 s9, vcc_lo, exec_lo
	s_or_b32 s7, s7, s9
	s_or_b32 exec_lo, exec_lo, s8
	v_mov_b32_e32 v6, 0
	s_and_saveexec_b32 s8, s7
	s_cbranch_execnz .LBB8_1823
	s_branch .LBB8_1824
.LBB8_2152:
	s_andn2_saveexec_b32 s9, s9
	s_cbranch_execz .LBB8_1928
.LBB8_2153:
	v_add_f32_e64 v3, 0x46000000, |v2|
	s_andn2_b32 s8, s8, exec_lo
	v_and_b32_e32 v3, 0xff, v3
	v_cmp_ne_u32_e32 vcc_lo, 0, v3
	s_and_b32 s10, vcc_lo, exec_lo
	s_or_b32 s8, s8, s10
	s_or_b32 exec_lo, exec_lo, s9
	v_mov_b32_e32 v6, 0
	s_and_saveexec_b32 s9, s8
	s_cbranch_execnz .LBB8_1929
	s_branch .LBB8_1930
.LBB8_2154:
	s_or_b32 s26, s26, exec_lo
	s_trap 2
	s_cbranch_execz .LBB8_1976
	s_branch .LBB8_1977
.LBB8_2155:
	s_andn2_saveexec_b32 s8, s8
	s_cbranch_execz .LBB8_1941
.LBB8_2156:
	v_add_f32_e64 v3, 0x42800000, |v2|
	s_andn2_b32 s7, s7, exec_lo
	v_and_b32_e32 v3, 0xff, v3
	v_cmp_ne_u32_e32 vcc_lo, 0, v3
	s_and_b32 s9, vcc_lo, exec_lo
	s_or_b32 s7, s7, s9
	s_or_b32 exec_lo, exec_lo, s8
	v_mov_b32_e32 v6, 0
	s_and_saveexec_b32 s8, s7
	s_cbranch_execnz .LBB8_1942
	s_branch .LBB8_1943
.LBB8_2157:
	s_andn2_saveexec_b32 s9, s9
	s_cbranch_execz .LBB8_2048
.LBB8_2158:
	v_add_f32_e64 v3, 0x46000000, |v2|
	s_andn2_b32 s8, s8, exec_lo
	v_and_b32_e32 v3, 0xff, v3
	v_cmp_ne_u32_e32 vcc_lo, 0, v3
	s_and_b32 s10, vcc_lo, exec_lo
	s_or_b32 s8, s8, s10
	s_or_b32 exec_lo, exec_lo, s9
	v_mov_b32_e32 v6, 0
	s_and_saveexec_b32 s9, s8
	s_cbranch_execnz .LBB8_2049
	s_branch .LBB8_2050
.LBB8_2159:
	s_mov_b32 s6, 0
	s_or_b32 s26, s26, exec_lo
	s_trap 2
	s_branch .LBB8_2094
.LBB8_2160:
	s_andn2_saveexec_b32 s8, s8
	s_cbranch_execz .LBB8_2060
.LBB8_2161:
	v_add_f32_e64 v3, 0x42800000, |v2|
	s_andn2_b32 s7, s7, exec_lo
	v_and_b32_e32 v3, 0xff, v3
	v_cmp_ne_u32_e32 vcc_lo, 0, v3
	s_and_b32 s9, vcc_lo, exec_lo
	s_or_b32 s7, s7, s9
	s_or_b32 exec_lo, exec_lo, s8
	v_mov_b32_e32 v6, 0
	s_and_saveexec_b32 s8, s7
	s_cbranch_execnz .LBB8_2061
	s_branch .LBB8_2062
	.section	.rodata,"a",@progbits
	.p2align	6, 0x0
	.amdhsa_kernel _ZN2at6native32elementwise_kernel_manual_unrollILi128ELi4EZNS0_15gpu_kernel_implIZZZNS0_12_GLOBAL__N_121bessel_j1_kernel_cudaERNS_18TensorIteratorBaseEENKUlvE_clEvENKUlvE_clEvEUldE_EEvS5_RKT_EUlibE0_EEviT1_
		.amdhsa_group_segment_fixed_size 0
		.amdhsa_private_segment_fixed_size 0
		.amdhsa_kernarg_size 360
		.amdhsa_user_sgpr_count 6
		.amdhsa_user_sgpr_private_segment_buffer 1
		.amdhsa_user_sgpr_dispatch_ptr 0
		.amdhsa_user_sgpr_queue_ptr 0
		.amdhsa_user_sgpr_kernarg_segment_ptr 1
		.amdhsa_user_sgpr_dispatch_id 0
		.amdhsa_user_sgpr_flat_scratch_init 0
		.amdhsa_user_sgpr_private_segment_size 0
		.amdhsa_wavefront_size32 1
		.amdhsa_uses_dynamic_stack 0
		.amdhsa_system_sgpr_private_segment_wavefront_offset 0
		.amdhsa_system_sgpr_workgroup_id_x 1
		.amdhsa_system_sgpr_workgroup_id_y 0
		.amdhsa_system_sgpr_workgroup_id_z 0
		.amdhsa_system_sgpr_workgroup_info 0
		.amdhsa_system_vgpr_workitem_id 0
		.amdhsa_next_free_vgpr 84
		.amdhsa_next_free_sgpr 76
		.amdhsa_reserve_vcc 1
		.amdhsa_reserve_flat_scratch 0
		.amdhsa_float_round_mode_32 0
		.amdhsa_float_round_mode_16_64 0
		.amdhsa_float_denorm_mode_32 3
		.amdhsa_float_denorm_mode_16_64 3
		.amdhsa_dx10_clamp 1
		.amdhsa_ieee_mode 1
		.amdhsa_fp16_overflow 0
		.amdhsa_workgroup_processor_mode 1
		.amdhsa_memory_ordered 1
		.amdhsa_forward_progress 1
		.amdhsa_shared_vgpr_count 0
		.amdhsa_exception_fp_ieee_invalid_op 0
		.amdhsa_exception_fp_denorm_src 0
		.amdhsa_exception_fp_ieee_div_zero 0
		.amdhsa_exception_fp_ieee_overflow 0
		.amdhsa_exception_fp_ieee_underflow 0
		.amdhsa_exception_fp_ieee_inexact 0
		.amdhsa_exception_int_div_zero 0
	.end_amdhsa_kernel
	.section	.text._ZN2at6native32elementwise_kernel_manual_unrollILi128ELi4EZNS0_15gpu_kernel_implIZZZNS0_12_GLOBAL__N_121bessel_j1_kernel_cudaERNS_18TensorIteratorBaseEENKUlvE_clEvENKUlvE_clEvEUldE_EEvS5_RKT_EUlibE0_EEviT1_,"axG",@progbits,_ZN2at6native32elementwise_kernel_manual_unrollILi128ELi4EZNS0_15gpu_kernel_implIZZZNS0_12_GLOBAL__N_121bessel_j1_kernel_cudaERNS_18TensorIteratorBaseEENKUlvE_clEvENKUlvE_clEvEUldE_EEvS5_RKT_EUlibE0_EEviT1_,comdat
.Lfunc_end8:
	.size	_ZN2at6native32elementwise_kernel_manual_unrollILi128ELi4EZNS0_15gpu_kernel_implIZZZNS0_12_GLOBAL__N_121bessel_j1_kernel_cudaERNS_18TensorIteratorBaseEENKUlvE_clEvENKUlvE_clEvEUldE_EEvS5_RKT_EUlibE0_EEviT1_, .Lfunc_end8-_ZN2at6native32elementwise_kernel_manual_unrollILi128ELi4EZNS0_15gpu_kernel_implIZZZNS0_12_GLOBAL__N_121bessel_j1_kernel_cudaERNS_18TensorIteratorBaseEENKUlvE_clEvENKUlvE_clEvEUldE_EEvS5_RKT_EUlibE0_EEviT1_
                                        ; -- End function
	.set _ZN2at6native32elementwise_kernel_manual_unrollILi128ELi4EZNS0_15gpu_kernel_implIZZZNS0_12_GLOBAL__N_121bessel_j1_kernel_cudaERNS_18TensorIteratorBaseEENKUlvE_clEvENKUlvE_clEvEUldE_EEvS5_RKT_EUlibE0_EEviT1_.num_vgpr, max(62, .L_ZZZZN2at6native12_GLOBAL__N_121bessel_j1_kernel_cudaERNS_18TensorIteratorBaseEENKUlvE_clEvENKUlvE_clEvENKUldE_clEd.num_vgpr)
	.set _ZN2at6native32elementwise_kernel_manual_unrollILi128ELi4EZNS0_15gpu_kernel_implIZZZNS0_12_GLOBAL__N_121bessel_j1_kernel_cudaERNS_18TensorIteratorBaseEENKUlvE_clEvENKUlvE_clEvEUldE_EEvS5_RKT_EUlibE0_EEviT1_.num_agpr, max(0, .L_ZZZZN2at6native12_GLOBAL__N_121bessel_j1_kernel_cudaERNS_18TensorIteratorBaseEENKUlvE_clEvENKUlvE_clEvENKUldE_clEd.num_agpr)
	.set _ZN2at6native32elementwise_kernel_manual_unrollILi128ELi4EZNS0_15gpu_kernel_implIZZZNS0_12_GLOBAL__N_121bessel_j1_kernel_cudaERNS_18TensorIteratorBaseEENKUlvE_clEvENKUlvE_clEvEUldE_EEvS5_RKT_EUlibE0_EEviT1_.numbered_sgpr, max(76, .L_ZZZZN2at6native12_GLOBAL__N_121bessel_j1_kernel_cudaERNS_18TensorIteratorBaseEENKUlvE_clEvENKUlvE_clEvENKUldE_clEd.numbered_sgpr)
	.set _ZN2at6native32elementwise_kernel_manual_unrollILi128ELi4EZNS0_15gpu_kernel_implIZZZNS0_12_GLOBAL__N_121bessel_j1_kernel_cudaERNS_18TensorIteratorBaseEENKUlvE_clEvENKUlvE_clEvEUldE_EEvS5_RKT_EUlibE0_EEviT1_.num_named_barrier, max(0, .L_ZZZZN2at6native12_GLOBAL__N_121bessel_j1_kernel_cudaERNS_18TensorIteratorBaseEENKUlvE_clEvENKUlvE_clEvENKUldE_clEd.num_named_barrier)
	.set _ZN2at6native32elementwise_kernel_manual_unrollILi128ELi4EZNS0_15gpu_kernel_implIZZZNS0_12_GLOBAL__N_121bessel_j1_kernel_cudaERNS_18TensorIteratorBaseEENKUlvE_clEvENKUlvE_clEvEUldE_EEvS5_RKT_EUlibE0_EEviT1_.private_seg_size, 0+max(.L_ZZZZN2at6native12_GLOBAL__N_121bessel_j1_kernel_cudaERNS_18TensorIteratorBaseEENKUlvE_clEvENKUlvE_clEvENKUldE_clEd.private_seg_size)
	.set _ZN2at6native32elementwise_kernel_manual_unrollILi128ELi4EZNS0_15gpu_kernel_implIZZZNS0_12_GLOBAL__N_121bessel_j1_kernel_cudaERNS_18TensorIteratorBaseEENKUlvE_clEvENKUlvE_clEvEUldE_EEvS5_RKT_EUlibE0_EEviT1_.uses_vcc, or(1, .L_ZZZZN2at6native12_GLOBAL__N_121bessel_j1_kernel_cudaERNS_18TensorIteratorBaseEENKUlvE_clEvENKUlvE_clEvENKUldE_clEd.uses_vcc)
	.set _ZN2at6native32elementwise_kernel_manual_unrollILi128ELi4EZNS0_15gpu_kernel_implIZZZNS0_12_GLOBAL__N_121bessel_j1_kernel_cudaERNS_18TensorIteratorBaseEENKUlvE_clEvENKUlvE_clEvEUldE_EEvS5_RKT_EUlibE0_EEviT1_.uses_flat_scratch, or(0, .L_ZZZZN2at6native12_GLOBAL__N_121bessel_j1_kernel_cudaERNS_18TensorIteratorBaseEENKUlvE_clEvENKUlvE_clEvENKUldE_clEd.uses_flat_scratch)
	.set _ZN2at6native32elementwise_kernel_manual_unrollILi128ELi4EZNS0_15gpu_kernel_implIZZZNS0_12_GLOBAL__N_121bessel_j1_kernel_cudaERNS_18TensorIteratorBaseEENKUlvE_clEvENKUlvE_clEvEUldE_EEvS5_RKT_EUlibE0_EEviT1_.has_dyn_sized_stack, or(0, .L_ZZZZN2at6native12_GLOBAL__N_121bessel_j1_kernel_cudaERNS_18TensorIteratorBaseEENKUlvE_clEvENKUlvE_clEvENKUldE_clEd.has_dyn_sized_stack)
	.set _ZN2at6native32elementwise_kernel_manual_unrollILi128ELi4EZNS0_15gpu_kernel_implIZZZNS0_12_GLOBAL__N_121bessel_j1_kernel_cudaERNS_18TensorIteratorBaseEENKUlvE_clEvENKUlvE_clEvEUldE_EEvS5_RKT_EUlibE0_EEviT1_.has_recursion, or(0, .L_ZZZZN2at6native12_GLOBAL__N_121bessel_j1_kernel_cudaERNS_18TensorIteratorBaseEENKUlvE_clEvENKUlvE_clEvENKUldE_clEd.has_recursion)
	.set _ZN2at6native32elementwise_kernel_manual_unrollILi128ELi4EZNS0_15gpu_kernel_implIZZZNS0_12_GLOBAL__N_121bessel_j1_kernel_cudaERNS_18TensorIteratorBaseEENKUlvE_clEvENKUlvE_clEvEUldE_EEvS5_RKT_EUlibE0_EEviT1_.has_indirect_call, or(0, .L_ZZZZN2at6native12_GLOBAL__N_121bessel_j1_kernel_cudaERNS_18TensorIteratorBaseEENKUlvE_clEvENKUlvE_clEvENKUldE_clEd.has_indirect_call)
	.section	.AMDGPU.csdata,"",@progbits
; Kernel info:
; codeLenInByte = 40468
; TotalNumSgprs: 78
; NumVgprs: 84
; ScratchSize: 0
; MemoryBound: 1
; FloatMode: 240
; IeeeMode: 1
; LDSByteSize: 0 bytes/workgroup (compile time only)
; SGPRBlocks: 0
; VGPRBlocks: 10
; NumSGPRsForWavesPerEU: 78
; NumVGPRsForWavesPerEU: 84
; Occupancy: 10
; WaveLimiterHint : 1
; COMPUTE_PGM_RSRC2:SCRATCH_EN: 0
; COMPUTE_PGM_RSRC2:USER_SGPR: 6
; COMPUTE_PGM_RSRC2:TRAP_HANDLER: 0
; COMPUTE_PGM_RSRC2:TGID_X_EN: 1
; COMPUTE_PGM_RSRC2:TGID_Y_EN: 0
; COMPUTE_PGM_RSRC2:TGID_Z_EN: 0
; COMPUTE_PGM_RSRC2:TIDIG_COMP_CNT: 0
	.text
	.p2align	2                               ; -- Begin function _ZN3c104guts5applyIRZZZN2at6native12_GLOBAL__N_121bessel_j1_kernel_cudaERNS2_18TensorIteratorBaseEENKUlvE_clEvENKUlvE0_clEvEUlfE_RSt5tupleIJfEEEEDaOT_OT0_
	.type	_ZN3c104guts5applyIRZZZN2at6native12_GLOBAL__N_121bessel_j1_kernel_cudaERNS2_18TensorIteratorBaseEENKUlvE_clEvENKUlvE0_clEvEUlfE_RSt5tupleIJfEEEEDaOT_OT0_,@function
_ZN3c104guts5applyIRZZZN2at6native12_GLOBAL__N_121bessel_j1_kernel_cudaERNS2_18TensorIteratorBaseEENKUlvE_clEvENKUlvE0_clEvEUlfE_RSt5tupleIJfEEEEDaOT_OT0_: ; @_ZN3c104guts5applyIRZZZN2at6native12_GLOBAL__N_121bessel_j1_kernel_cudaERNS2_18TensorIteratorBaseEENKUlvE_clEvENKUlvE0_clEvEUlfE_RSt5tupleIJfEEEEDaOT_OT0_
; %bb.0:
                                        ; implicit-def: $vgpr1
	s_waitcnt vmcnt(0) expcnt(0) lgkmcnt(0)
	s_mov_b32 s4, exec_lo
	v_cmpx_ngt_f32_e32 0, v0
	s_xor_b32 s7, exec_lo, s4
	s_cbranch_execz .LBB9_6
; %bb.1:
	s_mov_b32 s4, exec_lo
                                        ; implicit-def: $vgpr1
	v_cmpx_ge_f32_e32 0x40a00000, v0
	s_xor_b32 s4, exec_lo, s4
	s_cbranch_execz .LBB9_3
; %bb.2:
	v_mul_f32_e32 v1, v0, v0
	v_fmaak_f32 v2, 0, v1, 0x441b3589
	v_fmaak_f32 v3, 0, v1, 0xce5691e2
	;; [unrolled: 1-line block ×12, first 2 shown]
	v_div_scale_f32 v2, null, v1, v1, v3
	v_div_scale_f32 v6, vcc_lo, v3, v1, v3
	v_rcp_f32_e32 v4, v2
	v_fma_f32 v5, -v2, v4, 1.0
	v_fmac_f32_e32 v4, v5, v4
	v_mul_f32_e32 v5, v6, v4
	v_fma_f32 v7, -v2, v5, v6
	v_fmac_f32_e32 v5, v7, v4
	v_fma_f32 v2, -v2, v5, v6
	v_div_fmas_f32 v2, v2, v4, v5
	v_div_fixup_f32 v1, v2, v1, v3
	v_fmaak_f32 v2, v0, v0, 0xc16ae95a
	v_mul_f32_e32 v1, v0, v1
	v_fmaak_f32 v0, v0, v0, 0xc244dfb3
	v_mul_f32_e32 v1, v2, v1
	v_mul_f32_e32 v1, v0, v1
                                        ; implicit-def: $vgpr0
.LBB9_3:
	s_andn2_saveexec_b32 s8, s4
	s_cbranch_execz .LBB9_23
; %bb.4:
	v_add_f32_e32 v1, 0xc016cbe4, v0
                                        ; implicit-def: $vgpr4
                                        ; implicit-def: $vgpr3
	v_and_b32_e32 v2, 0x7fffffff, v1
	v_cmp_ngt_f32_e64 s6, 0x48000000, |v1|
	v_lshrrev_b32_e32 v6, 23, v2
	s_and_saveexec_b32 s4, s6
	s_xor_b32 s9, exec_lo, s4
	s_cbranch_execz .LBB9_12
; %bb.5:
	s_mov_b32 s4, 0x7fffff
	v_mov_b32_e32 v5, 0
	v_and_or_b32 v13, v2, s4, 0x800000
	v_add_nc_u32_e32 v12, 0xffffff88, v6
	v_mad_u64_u32 v[3:4], null, 0xfe5163ab, v13, 0
	v_cmp_lt_u32_e32 vcc_lo, 63, v12
	v_cndmask_b32_e64 v14, 0, 0xffffffc0, vcc_lo
	v_mad_u64_u32 v[7:8], null, 0x3c439041, v13, v[4:5]
	v_add_nc_u32_e32 v14, v14, v12
	v_mov_b32_e32 v4, v8
	v_cmp_lt_u32_e64 s4, 31, v14
	v_mad_u64_u32 v[8:9], null, 0xdb629599, v13, v[4:5]
	v_cndmask_b32_e64 v15, 0, 0xffffffe0, s4
	v_mov_b32_e32 v4, v9
	v_cndmask_b32_e32 v3, v8, v3, vcc_lo
	v_mad_u64_u32 v[9:10], null, 0xf534ddc0, v13, v[4:5]
	v_mov_b32_e32 v4, v10
	v_cndmask_b32_e32 v7, v9, v7, vcc_lo
	v_mad_u64_u32 v[10:11], null, 0xfc2757d1, v13, v[4:5]
	v_cndmask_b32_e64 v3, v7, v3, s4
	v_mov_b32_e32 v4, v11
	v_mad_u64_u32 v[11:12], null, 0x4e441529, v13, v[4:5]
	v_mov_b32_e32 v4, v12
	v_add_nc_u32_e32 v12, v15, v14
	v_cndmask_b32_e32 v14, v11, v9, vcc_lo
	v_mad_u64_u32 v[4:5], null, 0xa2f9836e, v13, v[4:5]
	v_cmp_lt_u32_e64 s5, 31, v12
	v_cndmask_b32_e64 v13, 0, 0xffffffe0, s5
	v_cndmask_b32_e32 v4, v4, v10, vcc_lo
	v_cndmask_b32_e32 v5, v5, v11, vcc_lo
	;; [unrolled: 1-line block ×3, first 2 shown]
	v_add_nc_u32_e32 v11, v13, v12
	v_cndmask_b32_e64 v9, v4, v14, s4
	v_cndmask_b32_e64 v4, v5, v4, s4
	;; [unrolled: 1-line block ×4, first 2 shown]
	v_sub_nc_u32_e32 v12, 32, v11
	v_cmp_eq_u32_e32 vcc_lo, 0, v11
	v_cndmask_b32_e64 v4, v4, v9, s5
	v_cndmask_b32_e64 v9, v9, v5, s5
	;; [unrolled: 1-line block ×4, first 2 shown]
	v_alignbit_b32 v13, v4, v9, v12
	v_alignbit_b32 v8, v9, v5, v12
	;; [unrolled: 1-line block ×3, first 2 shown]
	v_cndmask_b32_e32 v4, v13, v4, vcc_lo
	v_cndmask_b32_e32 v7, v8, v9, vcc_lo
	;; [unrolled: 1-line block ×3, first 2 shown]
	v_bfe_u32 v8, v4, 29, 1
	v_alignbit_b32 v9, v4, v7, 30
	v_alignbit_b32 v7, v7, v5, 30
	;; [unrolled: 1-line block ×3, first 2 shown]
	v_sub_nc_u32_e32 v10, 0, v8
	v_xor_b32_e32 v9, v9, v10
	v_xor_b32_e32 v5, v7, v10
	;; [unrolled: 1-line block ×3, first 2 shown]
	v_lshrrev_b32_e32 v10, 29, v4
	v_lshrrev_b32_e32 v4, 30, v4
	v_ffbh_u32_e32 v11, v9
	v_add_nc_u32_e32 v4, v8, v4
	v_min_u32_e32 v11, 32, v11
	v_sub_nc_u32_e32 v7, 31, v11
	v_lshlrev_b32_e32 v12, 23, v11
	v_alignbit_b32 v9, v9, v5, v7
	v_alignbit_b32 v3, v5, v3, v7
	v_lshlrev_b32_e32 v5, 31, v10
	v_alignbit_b32 v7, v9, v3, 9
	v_or_b32_e32 v10, 0.5, v5
	v_lshrrev_b32_e32 v9, 9, v9
	v_or_b32_e32 v5, 0x33000000, v5
	v_ffbh_u32_e32 v13, v7
	v_sub_nc_u32_e32 v10, v10, v12
	v_min_u32_e32 v12, 32, v13
	v_or_b32_e32 v9, v9, v10
	v_not_b32_e32 v10, v12
	v_mul_f32_e32 v13, 0x3fc90fda, v9
	v_add_lshl_u32 v11, v12, v11, 23
	v_alignbit_b32 v3, v7, v3, v10
	v_fma_f32 v7, 0x3fc90fda, v9, -v13
	v_sub_nc_u32_e32 v5, v5, v11
	v_lshrrev_b32_e32 v3, 9, v3
	v_fmamk_f32 v7, v9, 0x33a22168, v7
	v_or_b32_e32 v3, v5, v3
	v_fmac_f32_e32 v7, 0x3fc90fda, v3
	v_add_f32_e32 v3, v13, v7
	s_or_saveexec_b32 s4, s9
	v_mul_f32_e64 v8, 0x3f22f983, |v1|
	s_xor_b32 exec_lo, exec_lo, s4
	s_branch .LBB9_13
.LBB9_6:
	s_andn2_saveexec_b32 s8, s7
	s_cbranch_execz .LBB9_24
.LBB9_7:
	s_mov_b32 s4, exec_lo
                                        ; implicit-def: $vgpr1
	v_cmpx_le_f32_e32 0xc0a00000, v0
	s_xor_b32 s4, exec_lo, s4
	s_cbranch_execz .LBB9_9
; %bb.8:
	v_mul_f32_e32 v1, v0, v0
	v_fmaak_f32 v2, 0, v1, 0x441b3589
	v_fmaak_f32 v3, 0, v1, 0xce5691e2
	;; [unrolled: 1-line block ×12, first 2 shown]
	v_div_scale_f32 v2, null, v1, v1, v3
	v_div_scale_f32 v6, vcc_lo, v3, v1, v3
	v_rcp_f32_e32 v4, v2
	v_fma_f32 v5, -v2, v4, 1.0
	v_fmac_f32_e32 v4, v5, v4
	v_mul_f32_e32 v5, v6, v4
	v_fma_f32 v7, -v2, v5, v6
	v_fmac_f32_e32 v5, v7, v4
	v_fma_f32 v2, -v2, v5, v6
	v_div_fmas_f32 v2, v2, v4, v5
	v_div_fixup_f32 v1, v2, v1, v3
	v_fmaak_f32 v2, v0, v0, 0xc16ae95a
	v_mul_f32_e64 v1, v1, -v0
	v_fmaak_f32 v0, v0, v0, 0xc244dfb3
	v_mul_f32_e32 v1, v2, v1
	v_mul_f32_e32 v1, v0, v1
                                        ; implicit-def: $vgpr0
.LBB9_9:
	s_andn2_saveexec_b32 s9, s4
	s_cbranch_execz .LBB9_28
; %bb.10:
	v_sub_f32_e32 v1, 0xc016cbe4, v0
                                        ; implicit-def: $vgpr4
                                        ; implicit-def: $vgpr3
	v_and_b32_e32 v2, 0x7fffffff, v1
	v_cmp_ngt_f32_e64 s6, 0x48000000, |v1|
	v_lshrrev_b32_e32 v6, 23, v2
	s_and_saveexec_b32 s4, s6
	s_xor_b32 s7, exec_lo, s4
	s_cbranch_execz .LBB9_16
; %bb.11:
	s_mov_b32 s4, 0x7fffff
	v_mov_b32_e32 v5, 0
	v_and_or_b32 v13, v2, s4, 0x800000
	v_add_nc_u32_e32 v12, 0xffffff88, v6
	v_mad_u64_u32 v[3:4], null, 0xfe5163ab, v13, 0
	v_cmp_lt_u32_e32 vcc_lo, 63, v12
	v_cndmask_b32_e64 v14, 0, 0xffffffc0, vcc_lo
	v_mad_u64_u32 v[7:8], null, 0x3c439041, v13, v[4:5]
	v_add_nc_u32_e32 v14, v14, v12
	v_mov_b32_e32 v4, v8
	v_cmp_lt_u32_e64 s4, 31, v14
	v_mad_u64_u32 v[8:9], null, 0xdb629599, v13, v[4:5]
	v_cndmask_b32_e64 v15, 0, 0xffffffe0, s4
	v_mov_b32_e32 v4, v9
	v_cndmask_b32_e32 v3, v8, v3, vcc_lo
	v_mad_u64_u32 v[9:10], null, 0xf534ddc0, v13, v[4:5]
	v_mov_b32_e32 v4, v10
	v_cndmask_b32_e32 v7, v9, v7, vcc_lo
	v_mad_u64_u32 v[10:11], null, 0xfc2757d1, v13, v[4:5]
	v_cndmask_b32_e64 v3, v7, v3, s4
	v_mov_b32_e32 v4, v11
	v_mad_u64_u32 v[11:12], null, 0x4e441529, v13, v[4:5]
	v_mov_b32_e32 v4, v12
	v_add_nc_u32_e32 v12, v15, v14
	v_cndmask_b32_e32 v14, v11, v9, vcc_lo
	v_mad_u64_u32 v[4:5], null, 0xa2f9836e, v13, v[4:5]
	v_cmp_lt_u32_e64 s5, 31, v12
	v_cndmask_b32_e64 v13, 0, 0xffffffe0, s5
	v_cndmask_b32_e32 v4, v4, v10, vcc_lo
	v_cndmask_b32_e32 v5, v5, v11, vcc_lo
	;; [unrolled: 1-line block ×3, first 2 shown]
	v_add_nc_u32_e32 v11, v13, v12
	v_cndmask_b32_e64 v9, v4, v14, s4
	v_cndmask_b32_e64 v4, v5, v4, s4
	;; [unrolled: 1-line block ×4, first 2 shown]
	v_sub_nc_u32_e32 v12, 32, v11
	v_cmp_eq_u32_e32 vcc_lo, 0, v11
	v_cndmask_b32_e64 v4, v4, v9, s5
	v_cndmask_b32_e64 v9, v9, v5, s5
	;; [unrolled: 1-line block ×4, first 2 shown]
	v_alignbit_b32 v13, v4, v9, v12
	v_alignbit_b32 v8, v9, v5, v12
	;; [unrolled: 1-line block ×3, first 2 shown]
	v_cndmask_b32_e32 v4, v13, v4, vcc_lo
	v_cndmask_b32_e32 v7, v8, v9, vcc_lo
	;; [unrolled: 1-line block ×3, first 2 shown]
	v_bfe_u32 v8, v4, 29, 1
	v_alignbit_b32 v9, v4, v7, 30
	v_alignbit_b32 v7, v7, v5, 30
	;; [unrolled: 1-line block ×3, first 2 shown]
	v_sub_nc_u32_e32 v10, 0, v8
	v_xor_b32_e32 v9, v9, v10
	v_xor_b32_e32 v5, v7, v10
	;; [unrolled: 1-line block ×3, first 2 shown]
	v_lshrrev_b32_e32 v10, 29, v4
	v_lshrrev_b32_e32 v4, 30, v4
	v_ffbh_u32_e32 v11, v9
	v_add_nc_u32_e32 v4, v8, v4
	v_min_u32_e32 v11, 32, v11
	v_sub_nc_u32_e32 v7, 31, v11
	v_lshlrev_b32_e32 v12, 23, v11
	v_alignbit_b32 v9, v9, v5, v7
	v_alignbit_b32 v3, v5, v3, v7
	v_lshlrev_b32_e32 v5, 31, v10
	v_alignbit_b32 v7, v9, v3, 9
	v_or_b32_e32 v10, 0.5, v5
	v_lshrrev_b32_e32 v9, 9, v9
	v_or_b32_e32 v5, 0x33000000, v5
	v_ffbh_u32_e32 v13, v7
	v_sub_nc_u32_e32 v10, v10, v12
	v_min_u32_e32 v12, 32, v13
	v_or_b32_e32 v9, v9, v10
	v_not_b32_e32 v10, v12
	v_mul_f32_e32 v13, 0x3fc90fda, v9
	v_add_lshl_u32 v11, v12, v11, 23
	v_alignbit_b32 v3, v7, v3, v10
	v_fma_f32 v7, 0x3fc90fda, v9, -v13
	v_sub_nc_u32_e32 v5, v5, v11
	v_lshrrev_b32_e32 v3, 9, v3
	v_fmamk_f32 v7, v9, 0x33a22168, v7
	v_or_b32_e32 v3, v5, v3
	v_fmac_f32_e32 v7, 0x3fc90fda, v3
	v_add_f32_e32 v3, v13, v7
	s_or_saveexec_b32 s4, s7
	v_mul_f32_e64 v8, 0x3f22f983, |v1|
	s_xor_b32 exec_lo, exec_lo, s4
	s_branch .LBB9_17
.LBB9_12:
	s_or_saveexec_b32 s4, s9
	v_mul_f32_e64 v8, 0x3f22f983, |v1|
	s_xor_b32 exec_lo, exec_lo, s4
.LBB9_13:
	v_rndne_f32_e32 v4, v8
	v_fma_f32 v3, 0xbfc90fda, v4, |v1|
	v_fmamk_f32 v3, v4, 0xb3a22168, v3
	v_fmamk_f32 v3, v4, 0xa7c234c4, v3
	v_cvt_i32_f32_e32 v4, v4
; %bb.14:
	s_or_b32 exec_lo, exec_lo, s4
                                        ; implicit-def: $vgpr7
                                        ; implicit-def: $vgpr5
	s_and_saveexec_b32 s4, s6
	s_xor_b32 s6, exec_lo, s4
	s_cbranch_execz .LBB9_20
; %bb.15:
	s_mov_b32 s4, 0x7fffff
	v_mov_b32_e32 v9, 0
	v_and_or_b32 v15, v2, s4, 0x800000
	v_mad_u64_u32 v[7:8], null, 0xfe5163ab, v15, 0
	v_mad_u64_u32 v[10:11], null, 0x3c439041, v15, v[8:9]
	v_mov_b32_e32 v8, v11
	v_mad_u64_u32 v[11:12], null, 0xdb629599, v15, v[8:9]
	v_mov_b32_e32 v8, v12
	;; [unrolled: 2-line block ×3, first 2 shown]
	v_add_nc_u32_e32 v13, 0xffffff88, v6
	v_mad_u64_u32 v[5:6], null, 0xfc2757d1, v15, v[8:9]
	v_cmp_lt_u32_e32 vcc_lo, 63, v13
	v_cndmask_b32_e64 v14, 0, 0xffffffc0, vcc_lo
	v_mov_b32_e32 v8, v6
	v_cndmask_b32_e32 v10, v12, v10, vcc_lo
	v_cndmask_b32_e32 v7, v11, v7, vcc_lo
	v_add_nc_u32_e32 v6, v14, v13
	v_mad_u64_u32 v[13:14], null, 0x4e441529, v15, v[8:9]
	v_cmp_lt_u32_e64 s4, 31, v6
	v_mov_b32_e32 v8, v14
	v_cndmask_b32_e64 v16, 0, 0xffffffe0, s4
	v_cndmask_b32_e64 v7, v10, v7, s4
	v_mad_u64_u32 v[8:9], null, 0xa2f9836e, v15, v[8:9]
	v_add_nc_u32_e32 v6, v16, v6
	v_cndmask_b32_e32 v15, v13, v12, vcc_lo
	v_cmp_lt_u32_e64 s5, 31, v6
	v_cndmask_b32_e32 v8, v8, v5, vcc_lo
	v_cndmask_b32_e32 v9, v9, v13, vcc_lo
	v_cndmask_b32_e32 v5, v5, v11, vcc_lo
	v_cndmask_b32_e64 v14, 0, 0xffffffe0, s5
	v_cndmask_b32_e64 v12, v8, v15, s4
	v_cndmask_b32_e64 v8, v9, v8, s4
	v_cndmask_b32_e64 v9, v15, v5, s4
	v_cndmask_b32_e64 v5, v5, v10, s4
	v_add_nc_u32_e32 v6, v14, v6
	v_cndmask_b32_e64 v8, v8, v12, s5
	v_cndmask_b32_e64 v12, v12, v9, s5
	;; [unrolled: 1-line block ×3, first 2 shown]
	v_sub_nc_u32_e32 v13, 32, v6
	v_cmp_eq_u32_e32 vcc_lo, 0, v6
	v_cndmask_b32_e64 v5, v5, v7, s5
	v_alignbit_b32 v14, v8, v12, v13
	v_alignbit_b32 v11, v12, v9, v13
	v_cndmask_b32_e32 v6, v14, v8, vcc_lo
	v_cndmask_b32_e32 v8, v11, v12, vcc_lo
	v_alignbit_b32 v12, v9, v5, v13
	v_bfe_u32 v10, v6, 29, 1
	v_alignbit_b32 v7, v6, v8, 30
	v_cndmask_b32_e32 v9, v12, v9, vcc_lo
	v_sub_nc_u32_e32 v11, 0, v10
	v_alignbit_b32 v8, v8, v9, 30
	v_alignbit_b32 v5, v9, v5, 30
	v_xor_b32_e32 v7, v7, v11
	v_xor_b32_e32 v8, v8, v11
	;; [unrolled: 1-line block ×3, first 2 shown]
	v_lshrrev_b32_e32 v11, 29, v6
	v_ffbh_u32_e32 v12, v7
	v_lshrrev_b32_e32 v6, 30, v6
	v_min_u32_e32 v12, 32, v12
	v_sub_nc_u32_e32 v9, 31, v12
	v_lshlrev_b32_e32 v13, 23, v12
	v_alignbit_b32 v7, v7, v8, v9
	v_alignbit_b32 v5, v8, v5, v9
	v_lshlrev_b32_e32 v8, 31, v11
	v_alignbit_b32 v9, v7, v5, 9
	v_or_b32_e32 v11, 0.5, v8
	v_lshrrev_b32_e32 v7, 9, v7
	v_or_b32_e32 v8, 0x33000000, v8
	v_ffbh_u32_e32 v14, v9
	v_sub_nc_u32_e32 v11, v11, v13
	v_min_u32_e32 v13, 32, v14
	v_or_b32_e32 v7, v7, v11
	v_not_b32_e32 v11, v13
	v_mul_f32_e32 v14, 0x3fc90fda, v7
	v_add_lshl_u32 v12, v13, v12, 23
	v_alignbit_b32 v5, v9, v5, v11
	v_fma_f32 v9, 0x3fc90fda, v7, -v14
	v_sub_nc_u32_e32 v8, v8, v12
	v_lshrrev_b32_e32 v5, 9, v5
	v_fmamk_f32 v7, v7, 0x33a22168, v9
	v_or_b32_e32 v5, v8, v5
                                        ; implicit-def: $vgpr8
	v_fmac_f32_e32 v7, 0x3fc90fda, v5
	v_add_f32_e32 v5, v14, v7
	v_add_nc_u32_e32 v7, v10, v6
	s_andn2_saveexec_b32 s4, s6
	s_cbranch_execnz .LBB9_21
	s_branch .LBB9_22
.LBB9_16:
	s_or_saveexec_b32 s4, s7
	v_mul_f32_e64 v8, 0x3f22f983, |v1|
	s_xor_b32 exec_lo, exec_lo, s4
.LBB9_17:
	v_rndne_f32_e32 v4, v8
	v_fma_f32 v3, 0xbfc90fda, v4, |v1|
	v_fmamk_f32 v3, v4, 0xb3a22168, v3
	v_fmamk_f32 v3, v4, 0xa7c234c4, v3
	v_cvt_i32_f32_e32 v4, v4
; %bb.18:
	s_or_b32 exec_lo, exec_lo, s4
                                        ; implicit-def: $vgpr7
                                        ; implicit-def: $vgpr5
	s_and_saveexec_b32 s4, s6
	s_xor_b32 s6, exec_lo, s4
	s_cbranch_execz .LBB9_25
; %bb.19:
	s_mov_b32 s4, 0x7fffff
	v_mov_b32_e32 v9, 0
	v_and_or_b32 v15, v2, s4, 0x800000
	v_mad_u64_u32 v[7:8], null, 0xfe5163ab, v15, 0
	v_mad_u64_u32 v[10:11], null, 0x3c439041, v15, v[8:9]
	v_mov_b32_e32 v8, v11
	v_mad_u64_u32 v[11:12], null, 0xdb629599, v15, v[8:9]
	v_mov_b32_e32 v8, v12
	;; [unrolled: 2-line block ×3, first 2 shown]
	v_add_nc_u32_e32 v13, 0xffffff88, v6
	v_mad_u64_u32 v[5:6], null, 0xfc2757d1, v15, v[8:9]
	v_cmp_lt_u32_e32 vcc_lo, 63, v13
	v_cndmask_b32_e64 v14, 0, 0xffffffc0, vcc_lo
	v_mov_b32_e32 v8, v6
	v_cndmask_b32_e32 v10, v12, v10, vcc_lo
	v_cndmask_b32_e32 v7, v11, v7, vcc_lo
	v_add_nc_u32_e32 v6, v14, v13
	v_mad_u64_u32 v[13:14], null, 0x4e441529, v15, v[8:9]
	v_cmp_lt_u32_e64 s4, 31, v6
	v_mov_b32_e32 v8, v14
	v_cndmask_b32_e64 v16, 0, 0xffffffe0, s4
	v_cndmask_b32_e64 v7, v10, v7, s4
	v_mad_u64_u32 v[8:9], null, 0xa2f9836e, v15, v[8:9]
	v_add_nc_u32_e32 v6, v16, v6
	v_cndmask_b32_e32 v15, v13, v12, vcc_lo
	v_cmp_lt_u32_e64 s5, 31, v6
	v_cndmask_b32_e32 v8, v8, v5, vcc_lo
	v_cndmask_b32_e32 v9, v9, v13, vcc_lo
	;; [unrolled: 1-line block ×3, first 2 shown]
	v_cndmask_b32_e64 v14, 0, 0xffffffe0, s5
	v_cndmask_b32_e64 v12, v8, v15, s4
	;; [unrolled: 1-line block ×5, first 2 shown]
	v_add_nc_u32_e32 v6, v14, v6
	v_cndmask_b32_e64 v8, v8, v12, s5
	v_cndmask_b32_e64 v12, v12, v9, s5
	v_cndmask_b32_e64 v9, v9, v5, s5
	v_sub_nc_u32_e32 v13, 32, v6
	v_cmp_eq_u32_e32 vcc_lo, 0, v6
	v_cndmask_b32_e64 v5, v5, v7, s5
	v_alignbit_b32 v14, v8, v12, v13
	v_alignbit_b32 v11, v12, v9, v13
	v_cndmask_b32_e32 v6, v14, v8, vcc_lo
	v_cndmask_b32_e32 v8, v11, v12, vcc_lo
	v_alignbit_b32 v12, v9, v5, v13
	v_bfe_u32 v10, v6, 29, 1
	v_alignbit_b32 v7, v6, v8, 30
	v_cndmask_b32_e32 v9, v12, v9, vcc_lo
	v_sub_nc_u32_e32 v11, 0, v10
	v_alignbit_b32 v8, v8, v9, 30
	v_alignbit_b32 v5, v9, v5, 30
	v_xor_b32_e32 v7, v7, v11
	v_xor_b32_e32 v8, v8, v11
	;; [unrolled: 1-line block ×3, first 2 shown]
	v_lshrrev_b32_e32 v11, 29, v6
	v_ffbh_u32_e32 v12, v7
	v_lshrrev_b32_e32 v6, 30, v6
	v_min_u32_e32 v12, 32, v12
	v_sub_nc_u32_e32 v9, 31, v12
	v_lshlrev_b32_e32 v13, 23, v12
	v_alignbit_b32 v7, v7, v8, v9
	v_alignbit_b32 v5, v8, v5, v9
	v_lshlrev_b32_e32 v8, 31, v11
	v_alignbit_b32 v9, v7, v5, 9
	v_or_b32_e32 v11, 0.5, v8
	v_lshrrev_b32_e32 v7, 9, v7
	v_or_b32_e32 v8, 0x33000000, v8
	v_ffbh_u32_e32 v14, v9
	v_sub_nc_u32_e32 v11, v11, v13
	v_min_u32_e32 v13, 32, v14
	v_or_b32_e32 v7, v7, v11
	v_not_b32_e32 v11, v13
	v_mul_f32_e32 v14, 0x3fc90fda, v7
	v_add_lshl_u32 v12, v13, v12, 23
	v_alignbit_b32 v5, v9, v5, v11
	v_fma_f32 v9, 0x3fc90fda, v7, -v14
	v_sub_nc_u32_e32 v8, v8, v12
	v_lshrrev_b32_e32 v5, 9, v5
	v_fmamk_f32 v7, v7, 0x33a22168, v9
	v_or_b32_e32 v5, v8, v5
                                        ; implicit-def: $vgpr8
	v_fmac_f32_e32 v7, 0x3fc90fda, v5
	v_add_f32_e32 v5, v14, v7
	v_add_nc_u32_e32 v7, v10, v6
	s_andn2_saveexec_b32 s4, s6
	s_cbranch_execnz .LBB9_26
	s_branch .LBB9_27
.LBB9_20:
	s_andn2_saveexec_b32 s4, s6
.LBB9_21:
	v_rndne_f32_e32 v6, v8
	v_fma_f32 v5, 0xbfc90fda, v6, |v1|
	v_cvt_i32_f32_e32 v7, v6
	v_fmamk_f32 v5, v6, 0xb3a22168, v5
	v_fmamk_f32 v5, v6, 0xa7c234c4, v5
.LBB9_22:
	s_or_b32 exec_lo, exec_lo, s4
	v_div_scale_f32 v6, null, v0, v0, 0x40a00000
	v_div_scale_f32 v10, vcc_lo, 0x40a00000, v0, 0x40a00000
	s_mov_b32 s4, 0xb94c1982
	v_rcp_f32_e32 v8, v6
	v_mul_f32_e32 v17, 0x4f800000, v0
	s_mov_b32 s5, 0x37d75334
	v_and_b32_e32 v12, 1, v7
	v_lshlrev_b32_e32 v7, 30, v7
	v_xor_b32_e32 v2, v2, v1
	v_and_b32_e32 v7, 0x80000000, v7
	v_fma_f32 v9, -v6, v8, 1.0
	v_fmac_f32_e32 v8, v9, v8
	v_mul_f32_e32 v9, v10, v8
	v_fma_f32 v11, -v6, v9, v10
	v_fmac_f32_e32 v9, v11, v8
	v_mul_f32_e32 v11, v5, v5
	v_fma_f32 v6, -v6, v9, v10
	v_fmaak_f32 v20, s4, v11, 0x3c0881c4
	v_fmaak_f32 v21, s5, v11, 0xbab64f3b
	v_div_fmas_f32 v6, v6, v8, v9
	v_mul_f32_e32 v8, v3, v3
	v_fmaak_f32 v21, v11, v21, 0x3d2aabf7
	v_and_b32_e32 v9, 1, v4
	v_fmaak_f32 v20, v11, v20, 0xbe2aaa9d
	v_div_fixup_f32 v6, v6, v0, 0x40a00000
	v_fmaak_f32 v18, s4, v8, 0x3c0881c4
	v_cmp_gt_f32_e64 s4, 0xf800000, v0
	v_fmaak_f32 v19, s5, v8, 0xbab64f3b
	v_fmaak_f32 v21, v11, v21, 0xbf000004
	v_mul_f32_e32 v10, v6, v6
	v_fmaak_f32 v18, v8, v18, 0xbe2aaa9d
	v_cndmask_b32_e64 v0, v0, v17, s4
	v_fmaak_f32 v19, v8, v19, 0x3d2aabf7
	v_mul_f32_e32 v20, v11, v20
	v_fmaak_f32 v13, 0, v10, 0x3d513fd3
	v_fmaak_f32 v14, 0, v10, 0x3a15c4d9
	;; [unrolled: 1-line block ×4, first 2 shown]
	v_mul_f32_e32 v18, v8, v18
	v_fmaak_f32 v13, v10, v13, 0x409f6dae
	v_fmaak_f32 v14, v10, v14, 0x3d8cfeeb
	;; [unrolled: 1-line block ×9, first 2 shown]
	v_fmac_f32_e32 v3, v3, v18
	v_fmaak_f32 v13, v10, v13, 0x43b763ca
	v_fmaak_f32 v14, v10, v14, 0x40a25d18
	;; [unrolled: 1-line block ×4, first 2 shown]
	v_sqrt_f32_e32 v24, v0
	v_fmaak_f32 v13, v10, v13, 0x4431b6ce
	v_fmaak_f32 v14, v10, v14, 0x410665cf
	;; [unrolled: 1-line block ×4, first 2 shown]
	v_fma_f32 v8, v8, v19, 1.0
	v_fmaak_f32 v13, v10, v13, 0x44155f56
	v_fmaak_f32 v14, v10, v14, 0x40a6b6ea
	;; [unrolled: 1-line block ×4, first 2 shown]
	v_fma_f32 v11, v11, v21, 1.0
	v_fmaak_f32 v13, v10, v13, 0x4353b052
	v_fma_f32 v14, v10, v14, 1.0
	v_fma_f32 v15, v10, v15, 1.0
	v_fmaak_f32 v16, v10, v16, 0x43a80bfb
	v_cmp_eq_u32_e64 s6, 0, v9
	v_fmaak_f32 v10, v10, v13, 0x41c9a7fa
	v_lshlrev_b32_e32 v4, 30, v4
	v_div_scale_f32 v13, null, v14, v14, v15
	v_div_scale_f32 v27, vcc_lo, v15, v14, v15
	v_div_scale_f32 v22, null, v16, v16, v10
	v_rcp_f32_e32 v17, v13
	v_fmac_f32_e32 v5, v5, v20
	v_cndmask_b32_e64 v3, -v3, v8, s6
	v_rcp_f32_e32 v23, v22
	v_cmp_eq_u32_e64 s6, 0, v12
	v_and_b32_e32 v4, 0x80000000, v4
	v_add_nc_u32_e32 v20, -1, v24
	v_cndmask_b32_e64 v5, v11, v5, s6
	v_fma_f32 v25, -v13, v17, 1.0
	v_fma_f32 v8, -v20, v24, v0
	v_xor_b32_e32 v3, v4, v3
	v_fma_f32 v26, -v22, v23, 1.0
	v_xor3_b32 v2, v2, v7, v5
	v_fmac_f32_e32 v17, v25, v17
	v_div_scale_f32 v25, s5, v10, v16, v10
	v_fmac_f32_e32 v23, v26, v23
	v_add_nc_u32_e32 v26, 1, v24
	v_mul_f32_e32 v18, v27, v17
	v_mul_f32_e32 v19, v25, v23
	v_fma_f32 v9, -v26, v24, v0
	v_fma_f32 v21, -v13, v18, v27
	;; [unrolled: 1-line block ×3, first 2 shown]
	v_fmac_f32_e32 v18, v21, v17
	v_fmac_f32_e32 v19, v28, v23
	v_fma_f32 v11, -v13, v18, v27
	v_fma_f32 v4, -v22, v19, v25
	v_div_fmas_f32 v11, v11, v17, v18
	s_mov_b32 vcc_lo, s5
	v_cmp_ge_f32_e64 s5, 0, v8
	v_div_fmas_f32 v4, v4, v23, v19
	v_cmp_class_f32_e64 vcc_lo, v1, 0x1f8
	v_cndmask_b32_e64 v1, v24, v20, s5
	v_div_fixup_f32 v4, v4, v16, v10
	v_cmp_lt_f32_e64 s5, 0, v9
	v_cndmask_b32_e32 v2, 0x7fc00000, v2, vcc_lo
	v_cndmask_b32_e32 v3, 0x7fc00000, v3, vcc_lo
	v_cmp_class_f32_e64 vcc_lo, v0, 0x260
	v_mul_f32_e32 v4, v6, v4
	v_cndmask_b32_e64 v1, v1, v26, s5
	v_div_fixup_f32 v6, v11, v14, v15
	v_mul_f32_e32 v2, v4, v2
	v_mul_f32_e32 v5, 0x37800000, v1
	v_fma_f32 v2, v6, v3, -v2
	v_cndmask_b32_e64 v1, v1, v5, s4
	v_cndmask_b32_e32 v0, v1, v0, vcc_lo
	v_mul_f32_e32 v1, 0x3f4c422a, v2
	v_div_scale_f32 v2, null, v0, v0, v1
	v_rcp_f32_e32 v3, v2
	v_fma_f32 v4, -v2, v3, 1.0
	v_fmac_f32_e32 v3, v4, v3
	v_div_scale_f32 v4, vcc_lo, v1, v0, v1
	v_mul_f32_e32 v5, v4, v3
	v_fma_f32 v6, -v2, v5, v4
	v_fmac_f32_e32 v5, v6, v3
	v_fma_f32 v2, -v2, v5, v4
	v_div_fmas_f32 v2, v2, v3, v5
	v_div_fixup_f32 v1, v2, v0, v1
.LBB9_23:
	s_or_b32 exec_lo, exec_lo, s8
                                        ; implicit-def: $vgpr0
	s_andn2_saveexec_b32 s8, s7
	s_cbranch_execnz .LBB9_7
.LBB9_24:
	s_or_b32 exec_lo, exec_lo, s8
	v_mov_b32_e32 v0, v1
	s_setpc_b64 s[30:31]
.LBB9_25:
	s_andn2_saveexec_b32 s4, s6
.LBB9_26:
	v_rndne_f32_e32 v6, v8
	v_fma_f32 v5, 0xbfc90fda, v6, |v1|
	v_cvt_i32_f32_e32 v7, v6
	v_fmamk_f32 v5, v6, 0xb3a22168, v5
	v_fmamk_f32 v5, v6, 0xa7c234c4, v5
.LBB9_27:
	s_or_b32 exec_lo, exec_lo, s4
	v_div_scale_f32 v6, null, v0, v0, 0xc0a00000
	v_div_scale_f32 v10, vcc_lo, 0xc0a00000, v0, 0xc0a00000
	v_mul_f32_e32 v12, v3, v3
	v_rcp_f32_e32 v8, v6
	s_mov_b32 s5, 0xb94c1982
	s_mov_b32 s6, 0x37d75334
	v_div_scale_f32 v13, null, v0, v0, 0x40a00000
	v_fmaak_f32 v15, s5, v12, 0x3c0881c4
	v_fmaak_f32 v16, s6, v12, 0xbab64f3b
	v_mul_f32_e32 v14, 0xcf800000, v0
	v_rcp_f32_e32 v17, v13
	v_xor_b32_e32 v2, v2, v1
	v_fma_f32 v9, -v6, v8, 1.0
	v_fmaak_f32 v15, v12, v15, 0xbe2aaa9d
	v_fmaak_f32 v16, v12, v16, 0x3d2aabf7
	v_fmac_f32_e32 v8, v9, v8
	v_mul_f32_e32 v15, v12, v15
	v_fmaak_f32 v16, v12, v16, 0xbf000004
	v_mul_f32_e32 v9, v10, v8
	v_fmac_f32_e32 v3, v3, v15
	v_fma_f32 v12, v12, v16, 1.0
	v_fma_f32 v11, -v6, v9, v10
	v_fmac_f32_e32 v9, v11, v8
	v_and_b32_e32 v11, 1, v4
	v_lshlrev_b32_e32 v4, 30, v4
	v_fma_f32 v6, -v6, v9, v10
	v_div_scale_f32 v10, s4, 0x40a00000, v0, 0x40a00000
	v_and_b32_e32 v4, 0x80000000, v4
	v_div_fmas_f32 v6, v6, v8, v9
	v_mul_f32_e32 v8, v5, v5
	v_and_b32_e32 v9, 1, v7
	v_lshlrev_b32_e32 v7, 30, v7
	v_div_fixup_f32 v6, v6, v0, 0xc0a00000
	v_fmaak_f32 v18, s5, v8, 0x3c0881c4
	v_fmaak_f32 v19, s6, v8, 0xbab64f3b
	v_cmp_lt_f32_e64 s5, 0x8f800000, v0
	v_cmp_eq_u32_e64 s6, 0, v11
	v_mul_f32_e32 v6, v6, v6
	v_fmaak_f32 v18, v8, v18, 0xbe2aaa9d
	v_fmaak_f32 v19, v8, v19, 0x3d2aabf7
	v_cndmask_b32_e64 v14, -v0, v14, s5
	v_cndmask_b32_e64 v3, -v3, v12, s6
	v_fmaak_f32 v20, 0, v6, 0x3a15c4d9
	v_fmaak_f32 v21, 0, v6, 0x3a47c962
	;; [unrolled: 1-line block ×4, first 2 shown]
	v_mul_f32_e32 v18, v8, v18
	v_fmaak_f32 v20, v6, v20, 0x3d8cfeeb
	v_fmaak_f32 v21, v6, v21, 0x3d95ca45
	;; [unrolled: 1-line block ×9, first 2 shown]
	v_fmac_f32_e32 v5, v5, v18
	v_fmaak_f32 v20, v6, v20, 0x40a25d18
	v_fmaak_f32 v21, v6, v21, 0x40a39628
	;; [unrolled: 1-line block ×4, first 2 shown]
	v_fma_f32 v8, v8, v19, 1.0
	v_fmaak_f32 v20, v6, v20, 0x410665cf
	v_fmaak_f32 v21, v6, v21, 0x4106c8e4
	;; [unrolled: 1-line block ×4, first 2 shown]
	v_cmp_eq_u32_e64 s7, 0, v9
	v_fmaak_f32 v20, v6, v20, 0x40a6b6ea
	v_fmaak_f32 v21, v6, v21, 0x40a6dd51
	;; [unrolled: 1-line block ×4, first 2 shown]
	v_sqrt_f32_e32 v24, v14
	v_fma_f32 v20, v6, v20, 1.0
	v_fma_f32 v21, v6, v21, 1.0
	v_fmaak_f32 v22, v6, v22, 0x4353b052
	v_fmaak_f32 v23, v6, v23, 0x43a80bfb
	v_cndmask_b32_e64 v5, v8, v5, s7
	v_cmp_class_f32_e64 s7, v1, 0x1f8
	v_div_scale_f32 v25, null, v20, v20, v21
	v_fmaak_f32 v6, v6, v22, 0x41c9a7fa
	v_fma_f32 v22, -v13, v17, 1.0
	v_add_nc_u32_e32 v18, -1, v24
	v_rcp_f32_e32 v26, v25
	v_xor_b32_e32 v3, v4, v3
	v_div_scale_f32 v27, null, v23, v23, v6
	v_fmac_f32_e32 v17, v22, v17
	v_div_scale_f32 v22, vcc_lo, v21, v20, v21
	v_rcp_f32_e32 v15, v27
	v_div_scale_f32 v11, s6, v6, v23, v6
	v_fma_f32 v16, -v25, v26, 1.0
	v_add_nc_u32_e32 v19, 1, v24
	v_fma_f32 v29, -v18, v24, v14
	v_and_b32_e32 v7, 0x80000000, v7
	v_cndmask_b32_e64 v3, 0x7fc00000, v3, s7
	v_fmac_f32_e32 v26, v16, v26
	v_fma_f32 v30, -v19, v24, v14
	v_fma_f32 v16, -v27, v15, 1.0
	v_xor3_b32 v2, v2, v7, v5
	v_mul_f32_e32 v12, v22, v26
	v_fmac_f32_e32 v15, v16, v15
	v_mul_f32_e32 v16, v10, v17
	v_cndmask_b32_e64 v2, 0x7fc00000, v2, s7
	v_fma_f32 v8, -v25, v12, v22
	v_mul_f32_e32 v9, v11, v15
	v_fma_f32 v28, -v13, v16, v10
	v_fmac_f32_e32 v12, v8, v26
	v_fma_f32 v8, -v27, v9, v11
	v_fmac_f32_e32 v16, v28, v17
	;; [unrolled: 2-line block ×3, first 2 shown]
	v_fma_f32 v4, -v13, v16, v10
	v_div_fmas_f32 v1, v1, v26, v12
	s_mov_b32 vcc_lo, s4
	v_fma_f32 v8, -v27, v9, v11
	v_div_fmas_f32 v4, v4, v17, v16
	s_mov_b32 vcc_lo, s6
	v_div_fixup_f32 v1, v1, v20, v21
	v_div_fmas_f32 v8, v8, v15, v9
	v_cmp_ge_f32_e32 vcc_lo, 0, v29
	v_div_fixup_f32 v0, v4, v0, 0x40a00000
	v_div_fixup_f32 v4, v8, v23, v6
	v_cndmask_b32_e32 v5, v24, v18, vcc_lo
	v_cmp_lt_f32_e32 vcc_lo, 0, v30
	v_mul_f32_e32 v0, v0, v4
	v_cndmask_b32_e32 v5, v5, v19, vcc_lo
	v_cmp_class_f32_e64 vcc_lo, v14, 0x260
	v_mul_f32_e32 v0, v0, v2
	v_mul_f32_e32 v4, 0x37800000, v5
	v_fmac_f32_e32 v0, v1, v3
	v_cndmask_b32_e64 v2, v5, v4, s5
	v_mul_f32_e32 v0, 0x3f4c422a, v0
	v_cndmask_b32_e32 v1, v2, v14, vcc_lo
	v_div_scale_f32 v2, null, v1, v1, v0
	v_rcp_f32_e32 v3, v2
	v_fma_f32 v4, -v2, v3, 1.0
	v_fmac_f32_e32 v3, v4, v3
	v_div_scale_f32 v4, vcc_lo, v0, v1, v0
	v_mul_f32_e32 v5, v4, v3
	v_fma_f32 v6, -v2, v5, v4
	v_fmac_f32_e32 v5, v6, v3
	v_fma_f32 v2, -v2, v5, v4
	v_div_fmas_f32 v2, v2, v3, v5
	v_div_fixup_f32 v1, v2, v1, v0
.LBB9_28:
	s_or_b32 exec_lo, exec_lo, s9
	v_xor_b32_e32 v1, 0x80000000, v1
	s_or_b32 exec_lo, exec_lo, s8
	v_mov_b32_e32 v0, v1
	s_setpc_b64 s[30:31]
.Lfunc_end9:
	.size	_ZN3c104guts5applyIRZZZN2at6native12_GLOBAL__N_121bessel_j1_kernel_cudaERNS2_18TensorIteratorBaseEENKUlvE_clEvENKUlvE0_clEvEUlfE_RSt5tupleIJfEEEEDaOT_OT0_, .Lfunc_end9-_ZN3c104guts5applyIRZZZN2at6native12_GLOBAL__N_121bessel_j1_kernel_cudaERNS2_18TensorIteratorBaseEENKUlvE_clEvENKUlvE0_clEvEUlfE_RSt5tupleIJfEEEEDaOT_OT0_
                                        ; -- End function
	.set .L_ZN3c104guts5applyIRZZZN2at6native12_GLOBAL__N_121bessel_j1_kernel_cudaERNS2_18TensorIteratorBaseEENKUlvE_clEvENKUlvE0_clEvEUlfE_RSt5tupleIJfEEEEDaOT_OT0_.num_vgpr, 31
	.set .L_ZN3c104guts5applyIRZZZN2at6native12_GLOBAL__N_121bessel_j1_kernel_cudaERNS2_18TensorIteratorBaseEENKUlvE_clEvENKUlvE0_clEvEUlfE_RSt5tupleIJfEEEEDaOT_OT0_.num_agpr, 0
	.set .L_ZN3c104guts5applyIRZZZN2at6native12_GLOBAL__N_121bessel_j1_kernel_cudaERNS2_18TensorIteratorBaseEENKUlvE_clEvENKUlvE0_clEvEUlfE_RSt5tupleIJfEEEEDaOT_OT0_.numbered_sgpr, 32
	.set .L_ZN3c104guts5applyIRZZZN2at6native12_GLOBAL__N_121bessel_j1_kernel_cudaERNS2_18TensorIteratorBaseEENKUlvE_clEvENKUlvE0_clEvEUlfE_RSt5tupleIJfEEEEDaOT_OT0_.num_named_barrier, 0
	.set .L_ZN3c104guts5applyIRZZZN2at6native12_GLOBAL__N_121bessel_j1_kernel_cudaERNS2_18TensorIteratorBaseEENKUlvE_clEvENKUlvE0_clEvEUlfE_RSt5tupleIJfEEEEDaOT_OT0_.private_seg_size, 0
	.set .L_ZN3c104guts5applyIRZZZN2at6native12_GLOBAL__N_121bessel_j1_kernel_cudaERNS2_18TensorIteratorBaseEENKUlvE_clEvENKUlvE0_clEvEUlfE_RSt5tupleIJfEEEEDaOT_OT0_.uses_vcc, 1
	.set .L_ZN3c104guts5applyIRZZZN2at6native12_GLOBAL__N_121bessel_j1_kernel_cudaERNS2_18TensorIteratorBaseEENKUlvE_clEvENKUlvE0_clEvEUlfE_RSt5tupleIJfEEEEDaOT_OT0_.uses_flat_scratch, 0
	.set .L_ZN3c104guts5applyIRZZZN2at6native12_GLOBAL__N_121bessel_j1_kernel_cudaERNS2_18TensorIteratorBaseEENKUlvE_clEvENKUlvE0_clEvEUlfE_RSt5tupleIJfEEEEDaOT_OT0_.has_dyn_sized_stack, 0
	.set .L_ZN3c104guts5applyIRZZZN2at6native12_GLOBAL__N_121bessel_j1_kernel_cudaERNS2_18TensorIteratorBaseEENKUlvE_clEvENKUlvE0_clEvEUlfE_RSt5tupleIJfEEEEDaOT_OT0_.has_recursion, 0
	.set .L_ZN3c104guts5applyIRZZZN2at6native12_GLOBAL__N_121bessel_j1_kernel_cudaERNS2_18TensorIteratorBaseEENKUlvE_clEvENKUlvE0_clEvEUlfE_RSt5tupleIJfEEEEDaOT_OT0_.has_indirect_call, 0
	.section	.AMDGPU.csdata,"",@progbits
; Function info:
; codeLenInByte = 5068
; TotalNumSgprs: 34
; NumVgprs: 31
; ScratchSize: 0
; MemoryBound: 0
	.section	.text._ZN2at6native29vectorized_elementwise_kernelILi16EZZZNS0_12_GLOBAL__N_121bessel_j1_kernel_cudaERNS_18TensorIteratorBaseEENKUlvE_clEvENKUlvE0_clEvEUlfE_St5arrayIPcLm2EEEEviT0_T1_,"axG",@progbits,_ZN2at6native29vectorized_elementwise_kernelILi16EZZZNS0_12_GLOBAL__N_121bessel_j1_kernel_cudaERNS_18TensorIteratorBaseEENKUlvE_clEvENKUlvE0_clEvEUlfE_St5arrayIPcLm2EEEEviT0_T1_,comdat
	.globl	_ZN2at6native29vectorized_elementwise_kernelILi16EZZZNS0_12_GLOBAL__N_121bessel_j1_kernel_cudaERNS_18TensorIteratorBaseEENKUlvE_clEvENKUlvE0_clEvEUlfE_St5arrayIPcLm2EEEEviT0_T1_ ; -- Begin function _ZN2at6native29vectorized_elementwise_kernelILi16EZZZNS0_12_GLOBAL__N_121bessel_j1_kernel_cudaERNS_18TensorIteratorBaseEENKUlvE_clEvENKUlvE0_clEvEUlfE_St5arrayIPcLm2EEEEviT0_T1_
	.p2align	8
	.type	_ZN2at6native29vectorized_elementwise_kernelILi16EZZZNS0_12_GLOBAL__N_121bessel_j1_kernel_cudaERNS_18TensorIteratorBaseEENKUlvE_clEvENKUlvE0_clEvEUlfE_St5arrayIPcLm2EEEEviT0_T1_,@function
_ZN2at6native29vectorized_elementwise_kernelILi16EZZZNS0_12_GLOBAL__N_121bessel_j1_kernel_cudaERNS_18TensorIteratorBaseEENKUlvE_clEvENKUlvE0_clEvEUlfE_St5arrayIPcLm2EEEEviT0_T1_: ; @_ZN2at6native29vectorized_elementwise_kernelILi16EZZZNS0_12_GLOBAL__N_121bessel_j1_kernel_cudaERNS_18TensorIteratorBaseEENKUlvE_clEvENKUlvE0_clEvEUlfE_St5arrayIPcLm2EEEEviT0_T1_
; %bb.0:
	s_add_u32 s0, s0, s7
	s_clause 0x1
	s_load_dword s7, s[4:5], 0x0
	s_load_dwordx4 s[12:15], s[4:5], 0x8
	s_addc_u32 s1, s1, 0
	s_lshl_b32 s16, s6, 10
	v_mov_b32_e32 v31, v0
	s_mov_b32 s4, -1
	s_mov_b32 s32, 0
	s_waitcnt lgkmcnt(0)
	s_sub_i32 s11, s7, s16
	s_cmpk_gt_i32 s11, 0x3ff
	s_cbranch_scc0 .LBB10_2
; %bb.1:
	s_ashr_i32 s17, s16, 31
	v_lshlrev_b32_e32 v36, 4, v31
	s_lshl_b64 s[18:19], s[16:17], 2
	s_add_u32 s4, s14, s18
	s_addc_u32 s5, s15, s19
	s_getpc_b64 s[20:21]
	s_add_u32 s20, s20, _ZN3c104guts5applyIRZZZN2at6native12_GLOBAL__N_121bessel_j1_kernel_cudaERNS2_18TensorIteratorBaseEENKUlvE_clEvENKUlvE0_clEvEUlfE_RSt5tupleIJfEEEEDaOT_OT0_@rel32@lo+4
	s_addc_u32 s21, s21, _ZN3c104guts5applyIRZZZN2at6native12_GLOBAL__N_121bessel_j1_kernel_cudaERNS2_18TensorIteratorBaseEENKUlvE_clEvENKUlvE0_clEvEUlfE_RSt5tupleIJfEEEEDaOT_OT0_@rel32@hi+12
	global_load_dwordx4 v[32:35], v36, s[4:5]
	s_waitcnt vmcnt(0)
	v_mov_b32_e32 v0, v32
	s_swappc_b64 s[30:31], s[20:21]
	v_mov_b32_e32 v32, v0
	v_mov_b32_e32 v0, v33
	s_swappc_b64 s[30:31], s[20:21]
	v_mov_b32_e32 v33, v0
	;; [unrolled: 3-line block ×4, first 2 shown]
	s_add_u32 s6, s12, s18
	s_addc_u32 s7, s13, s19
	s_mov_b32 s4, 0
	global_store_dwordx4 v36, v[32:35], s[6:7]
.LBB10_2:
	s_andn2_b32 vcc_lo, exec_lo, s4
	s_cbranch_vccnz .LBB10_23
; %bb.3:
	v_cmp_gt_i32_e64 s10, s11, v31
	v_mov_b32_e32 v32, 0
	v_or_b32_e32 v39, s16, v31
	v_or_b32_e32 v41, 0x100, v31
	v_mov_b32_e32 v0, 0
	v_mov_b32_e32 v1, v31
	s_and_saveexec_b32 s4, s10
	s_cbranch_execz .LBB10_5
; %bb.4:
	v_mov_b32_e32 v40, 0
	v_lshlrev_b64 v[0:1], 2, v[39:40]
	v_add_co_u32 v0, vcc_lo, s14, v0
	v_add_co_ci_u32_e64 v1, null, s15, v1, vcc_lo
	global_load_dword v0, v[0:1], off
	v_or_b32_e32 v1, 0x100, v31
.LBB10_5:
	s_or_b32 exec_lo, exec_lo, s4
	s_mov_b32 s4, exec_lo
	v_cmpx_gt_i32_e64 s11, v1
	s_cbranch_execz .LBB10_7
; %bb.6:
	v_add_nc_u32_e32 v2, s16, v1
	v_mov_b32_e32 v3, 0
	v_add_nc_u32_e32 v1, 0x100, v1
	v_lshlrev_b64 v[2:3], 2, v[2:3]
	v_add_co_u32 v2, vcc_lo, s14, v2
	v_add_co_ci_u32_e64 v3, null, s15, v3, vcc_lo
	global_load_dword v32, v[2:3], off
.LBB10_7:
	s_or_b32 exec_lo, exec_lo, s4
	v_mov_b32_e32 v33, 0
	v_mov_b32_e32 v34, 0
	s_mov_b32 s4, exec_lo
	v_cmpx_gt_i32_e64 s11, v1
	s_cbranch_execz .LBB10_9
; %bb.8:
	v_add_nc_u32_e32 v2, s16, v1
	v_mov_b32_e32 v3, 0
	v_add_nc_u32_e32 v1, 0x100, v1
	v_lshlrev_b64 v[2:3], 2, v[2:3]
	v_add_co_u32 v2, vcc_lo, s14, v2
	v_add_co_ci_u32_e64 v3, null, s15, v3, vcc_lo
	global_load_dword v34, v[2:3], off
.LBB10_9:
	s_or_b32 exec_lo, exec_lo, s4
	s_mov_b32 s4, exec_lo
	v_cmpx_gt_i32_e64 s11, v1
	s_cbranch_execz .LBB10_11
; %bb.10:
	v_add_nc_u32_e32 v1, s16, v1
	v_mov_b32_e32 v2, 0
	v_lshlrev_b64 v[1:2], 2, v[1:2]
	v_add_co_u32 v1, vcc_lo, s14, v1
	v_add_co_ci_u32_e64 v2, null, s15, v2, vcc_lo
	global_load_dword v33, v[1:2], off
.LBB10_11:
	s_or_b32 exec_lo, exec_lo, s4
	v_mov_b32_e32 v35, 0
	v_mov_b32_e32 v36, v35
	;; [unrolled: 1-line block ×4, first 2 shown]
	s_and_saveexec_b32 s14, s10
	s_cbranch_execz .LBB10_13
; %bb.12:
	s_getpc_b64 s[4:5]
	s_add_u32 s4, s4, _ZN3c104guts5applyIRZZZN2at6native12_GLOBAL__N_121bessel_j1_kernel_cudaERNS2_18TensorIteratorBaseEENKUlvE_clEvENKUlvE0_clEvEUlfE_RSt5tupleIJfEEEEDaOT_OT0_@rel32@lo+4
	s_addc_u32 s5, s5, _ZN3c104guts5applyIRZZZN2at6native12_GLOBAL__N_121bessel_j1_kernel_cudaERNS2_18TensorIteratorBaseEENKUlvE_clEvENKUlvE0_clEvEUlfE_RSt5tupleIJfEEEEDaOT_OT0_@rel32@hi+12
	s_swappc_b64 s[30:31], s[4:5]
	v_mov_b32_e32 v3, v35
	v_mov_b32_e32 v1, v35
	;; [unrolled: 1-line block ×7, first 2 shown]
.LBB10_13:
	s_or_b32 exec_lo, exec_lo, s14
	s_mov_b32 s14, exec_lo
	v_cmpx_gt_i32_e64 s11, v41
	s_cbranch_execz .LBB10_15
; %bb.14:
	s_waitcnt vmcnt(0)
	v_mov_b32_e32 v0, v32
	s_getpc_b64 s[4:5]
	s_add_u32 s4, s4, _ZN3c104guts5applyIRZZZN2at6native12_GLOBAL__N_121bessel_j1_kernel_cudaERNS2_18TensorIteratorBaseEENKUlvE_clEvENKUlvE0_clEvEUlfE_RSt5tupleIJfEEEEDaOT_OT0_@rel32@lo+4
	s_addc_u32 s5, s5, _ZN3c104guts5applyIRZZZN2at6native12_GLOBAL__N_121bessel_j1_kernel_cudaERNS2_18TensorIteratorBaseEENKUlvE_clEvENKUlvE0_clEvEUlfE_RSt5tupleIJfEEEEDaOT_OT0_@rel32@hi+12
	s_swappc_b64 s[30:31], s[4:5]
	v_mov_b32_e32 v36, v0
.LBB10_15:
	s_or_b32 exec_lo, exec_lo, s14
	s_waitcnt vmcnt(0)
	v_or_b32_e32 v0, 0x200, v31
	s_mov_b32 s14, exec_lo
	v_cmpx_gt_i32_e64 s11, v0
	s_cbranch_execz .LBB10_17
; %bb.16:
	v_mov_b32_e32 v0, v34
	s_getpc_b64 s[4:5]
	s_add_u32 s4, s4, _ZN3c104guts5applyIRZZZN2at6native12_GLOBAL__N_121bessel_j1_kernel_cudaERNS2_18TensorIteratorBaseEENKUlvE_clEvENKUlvE0_clEvEUlfE_RSt5tupleIJfEEEEDaOT_OT0_@rel32@lo+4
	s_addc_u32 s5, s5, _ZN3c104guts5applyIRZZZN2at6native12_GLOBAL__N_121bessel_j1_kernel_cudaERNS2_18TensorIteratorBaseEENKUlvE_clEvENKUlvE0_clEvEUlfE_RSt5tupleIJfEEEEDaOT_OT0_@rel32@hi+12
	s_swappc_b64 s[30:31], s[4:5]
	v_mov_b32_e32 v37, v0
.LBB10_17:
	s_or_b32 exec_lo, exec_lo, s14
	v_or_b32_e32 v0, 0x300, v31
	s_mov_b32 s14, exec_lo
	v_cmpx_gt_i32_e64 s11, v0
	s_cbranch_execnz .LBB10_24
; %bb.18:
	s_or_b32 exec_lo, exec_lo, s14
	s_and_saveexec_b32 s4, s10
	s_xor_b32 s4, exec_lo, s4
	s_cbranch_execnz .LBB10_25
.LBB10_19:
	s_or_b32 exec_lo, exec_lo, s4
	s_mov_b32 s4, exec_lo
	v_cmpx_gt_i32_e64 s11, v31
	s_cbranch_execnz .LBB10_26
.LBB10_20:
	s_or_b32 exec_lo, exec_lo, s4
	s_mov_b32 s4, exec_lo
	v_cmpx_gt_i32_e64 s11, v31
	s_cbranch_execnz .LBB10_27
.LBB10_21:
	s_or_b32 exec_lo, exec_lo, s4
	s_mov_b32 s4, exec_lo
	v_cmpx_gt_i32_e64 s11, v31
	s_cbranch_execz .LBB10_23
.LBB10_22:
	v_add_nc_u32_e32 v0, s16, v31
	v_mov_b32_e32 v1, 0
	v_lshlrev_b64 v[0:1], 2, v[0:1]
	v_add_co_u32 v0, vcc_lo, s12, v0
	v_add_co_ci_u32_e64 v1, null, s13, v1, vcc_lo
	global_store_dword v[0:1], v38, off
.LBB10_23:
	s_endpgm
.LBB10_24:
	v_mov_b32_e32 v0, v33
	s_getpc_b64 s[4:5]
	s_add_u32 s4, s4, _ZN3c104guts5applyIRZZZN2at6native12_GLOBAL__N_121bessel_j1_kernel_cudaERNS2_18TensorIteratorBaseEENKUlvE_clEvENKUlvE0_clEvEUlfE_RSt5tupleIJfEEEEDaOT_OT0_@rel32@lo+4
	s_addc_u32 s5, s5, _ZN3c104guts5applyIRZZZN2at6native12_GLOBAL__N_121bessel_j1_kernel_cudaERNS2_18TensorIteratorBaseEENKUlvE_clEvENKUlvE0_clEvEUlfE_RSt5tupleIJfEEEEDaOT_OT0_@rel32@hi+12
	s_swappc_b64 s[30:31], s[4:5]
	v_mov_b32_e32 v38, v0
	s_or_b32 exec_lo, exec_lo, s14
	s_and_saveexec_b32 s4, s10
	s_xor_b32 s4, exec_lo, s4
	s_cbranch_execz .LBB10_19
.LBB10_25:
	v_mov_b32_e32 v40, 0
	v_mov_b32_e32 v31, v41
	v_lshlrev_b64 v[0:1], 2, v[39:40]
	v_add_co_u32 v0, vcc_lo, s12, v0
	v_add_co_ci_u32_e64 v1, null, s13, v1, vcc_lo
	global_store_dword v[0:1], v35, off
	s_or_b32 exec_lo, exec_lo, s4
	s_mov_b32 s4, exec_lo
	v_cmpx_gt_i32_e64 s11, v31
	s_cbranch_execz .LBB10_20
.LBB10_26:
	v_add_nc_u32_e32 v0, s16, v31
	v_mov_b32_e32 v1, 0
	v_add_nc_u32_e32 v31, 0x100, v31
	v_lshlrev_b64 v[0:1], 2, v[0:1]
	v_add_co_u32 v0, vcc_lo, s12, v0
	v_add_co_ci_u32_e64 v1, null, s13, v1, vcc_lo
	global_store_dword v[0:1], v36, off
	s_or_b32 exec_lo, exec_lo, s4
	s_mov_b32 s4, exec_lo
	v_cmpx_gt_i32_e64 s11, v31
	s_cbranch_execz .LBB10_21
.LBB10_27:
	v_add_nc_u32_e32 v0, s16, v31
	v_mov_b32_e32 v1, 0
	v_add_nc_u32_e32 v31, 0x100, v31
	v_lshlrev_b64 v[0:1], 2, v[0:1]
	v_add_co_u32 v0, vcc_lo, s12, v0
	v_add_co_ci_u32_e64 v1, null, s13, v1, vcc_lo
	global_store_dword v[0:1], v37, off
	s_or_b32 exec_lo, exec_lo, s4
	s_mov_b32 s4, exec_lo
	v_cmpx_gt_i32_e64 s11, v31
	s_cbranch_execnz .LBB10_22
	s_branch .LBB10_23
	.section	.rodata,"a",@progbits
	.p2align	6, 0x0
	.amdhsa_kernel _ZN2at6native29vectorized_elementwise_kernelILi16EZZZNS0_12_GLOBAL__N_121bessel_j1_kernel_cudaERNS_18TensorIteratorBaseEENKUlvE_clEvENKUlvE0_clEvEUlfE_St5arrayIPcLm2EEEEviT0_T1_
		.amdhsa_group_segment_fixed_size 0
		.amdhsa_private_segment_fixed_size 0
		.amdhsa_kernarg_size 24
		.amdhsa_user_sgpr_count 6
		.amdhsa_user_sgpr_private_segment_buffer 1
		.amdhsa_user_sgpr_dispatch_ptr 0
		.amdhsa_user_sgpr_queue_ptr 0
		.amdhsa_user_sgpr_kernarg_segment_ptr 1
		.amdhsa_user_sgpr_dispatch_id 0
		.amdhsa_user_sgpr_flat_scratch_init 0
		.amdhsa_user_sgpr_private_segment_size 0
		.amdhsa_wavefront_size32 1
		.amdhsa_uses_dynamic_stack 0
		.amdhsa_system_sgpr_private_segment_wavefront_offset 0
		.amdhsa_system_sgpr_workgroup_id_x 1
		.amdhsa_system_sgpr_workgroup_id_y 0
		.amdhsa_system_sgpr_workgroup_id_z 0
		.amdhsa_system_sgpr_workgroup_info 0
		.amdhsa_system_vgpr_workitem_id 0
		.amdhsa_next_free_vgpr 42
		.amdhsa_next_free_sgpr 33
		.amdhsa_reserve_vcc 1
		.amdhsa_reserve_flat_scratch 0
		.amdhsa_float_round_mode_32 0
		.amdhsa_float_round_mode_16_64 0
		.amdhsa_float_denorm_mode_32 3
		.amdhsa_float_denorm_mode_16_64 3
		.amdhsa_dx10_clamp 1
		.amdhsa_ieee_mode 1
		.amdhsa_fp16_overflow 0
		.amdhsa_workgroup_processor_mode 1
		.amdhsa_memory_ordered 1
		.amdhsa_forward_progress 1
		.amdhsa_shared_vgpr_count 0
		.amdhsa_exception_fp_ieee_invalid_op 0
		.amdhsa_exception_fp_denorm_src 0
		.amdhsa_exception_fp_ieee_div_zero 0
		.amdhsa_exception_fp_ieee_overflow 0
		.amdhsa_exception_fp_ieee_underflow 0
		.amdhsa_exception_fp_ieee_inexact 0
		.amdhsa_exception_int_div_zero 0
	.end_amdhsa_kernel
	.section	.text._ZN2at6native29vectorized_elementwise_kernelILi16EZZZNS0_12_GLOBAL__N_121bessel_j1_kernel_cudaERNS_18TensorIteratorBaseEENKUlvE_clEvENKUlvE0_clEvEUlfE_St5arrayIPcLm2EEEEviT0_T1_,"axG",@progbits,_ZN2at6native29vectorized_elementwise_kernelILi16EZZZNS0_12_GLOBAL__N_121bessel_j1_kernel_cudaERNS_18TensorIteratorBaseEENKUlvE_clEvENKUlvE0_clEvEUlfE_St5arrayIPcLm2EEEEviT0_T1_,comdat
.Lfunc_end10:
	.size	_ZN2at6native29vectorized_elementwise_kernelILi16EZZZNS0_12_GLOBAL__N_121bessel_j1_kernel_cudaERNS_18TensorIteratorBaseEENKUlvE_clEvENKUlvE0_clEvEUlfE_St5arrayIPcLm2EEEEviT0_T1_, .Lfunc_end10-_ZN2at6native29vectorized_elementwise_kernelILi16EZZZNS0_12_GLOBAL__N_121bessel_j1_kernel_cudaERNS_18TensorIteratorBaseEENKUlvE_clEvENKUlvE0_clEvEUlfE_St5arrayIPcLm2EEEEviT0_T1_
                                        ; -- End function
	.set _ZN2at6native29vectorized_elementwise_kernelILi16EZZZNS0_12_GLOBAL__N_121bessel_j1_kernel_cudaERNS_18TensorIteratorBaseEENKUlvE_clEvENKUlvE0_clEvEUlfE_St5arrayIPcLm2EEEEviT0_T1_.num_vgpr, max(42, .L_ZN3c104guts5applyIRZZZN2at6native12_GLOBAL__N_121bessel_j1_kernel_cudaERNS2_18TensorIteratorBaseEENKUlvE_clEvENKUlvE0_clEvEUlfE_RSt5tupleIJfEEEEDaOT_OT0_.num_vgpr)
	.set _ZN2at6native29vectorized_elementwise_kernelILi16EZZZNS0_12_GLOBAL__N_121bessel_j1_kernel_cudaERNS_18TensorIteratorBaseEENKUlvE_clEvENKUlvE0_clEvEUlfE_St5arrayIPcLm2EEEEviT0_T1_.num_agpr, max(0, .L_ZN3c104guts5applyIRZZZN2at6native12_GLOBAL__N_121bessel_j1_kernel_cudaERNS2_18TensorIteratorBaseEENKUlvE_clEvENKUlvE0_clEvEUlfE_RSt5tupleIJfEEEEDaOT_OT0_.num_agpr)
	.set _ZN2at6native29vectorized_elementwise_kernelILi16EZZZNS0_12_GLOBAL__N_121bessel_j1_kernel_cudaERNS_18TensorIteratorBaseEENKUlvE_clEvENKUlvE0_clEvEUlfE_St5arrayIPcLm2EEEEviT0_T1_.numbered_sgpr, max(33, .L_ZN3c104guts5applyIRZZZN2at6native12_GLOBAL__N_121bessel_j1_kernel_cudaERNS2_18TensorIteratorBaseEENKUlvE_clEvENKUlvE0_clEvEUlfE_RSt5tupleIJfEEEEDaOT_OT0_.numbered_sgpr)
	.set _ZN2at6native29vectorized_elementwise_kernelILi16EZZZNS0_12_GLOBAL__N_121bessel_j1_kernel_cudaERNS_18TensorIteratorBaseEENKUlvE_clEvENKUlvE0_clEvEUlfE_St5arrayIPcLm2EEEEviT0_T1_.num_named_barrier, max(0, .L_ZN3c104guts5applyIRZZZN2at6native12_GLOBAL__N_121bessel_j1_kernel_cudaERNS2_18TensorIteratorBaseEENKUlvE_clEvENKUlvE0_clEvEUlfE_RSt5tupleIJfEEEEDaOT_OT0_.num_named_barrier)
	.set _ZN2at6native29vectorized_elementwise_kernelILi16EZZZNS0_12_GLOBAL__N_121bessel_j1_kernel_cudaERNS_18TensorIteratorBaseEENKUlvE_clEvENKUlvE0_clEvEUlfE_St5arrayIPcLm2EEEEviT0_T1_.private_seg_size, 0+max(.L_ZN3c104guts5applyIRZZZN2at6native12_GLOBAL__N_121bessel_j1_kernel_cudaERNS2_18TensorIteratorBaseEENKUlvE_clEvENKUlvE0_clEvEUlfE_RSt5tupleIJfEEEEDaOT_OT0_.private_seg_size)
	.set _ZN2at6native29vectorized_elementwise_kernelILi16EZZZNS0_12_GLOBAL__N_121bessel_j1_kernel_cudaERNS_18TensorIteratorBaseEENKUlvE_clEvENKUlvE0_clEvEUlfE_St5arrayIPcLm2EEEEviT0_T1_.uses_vcc, or(1, .L_ZN3c104guts5applyIRZZZN2at6native12_GLOBAL__N_121bessel_j1_kernel_cudaERNS2_18TensorIteratorBaseEENKUlvE_clEvENKUlvE0_clEvEUlfE_RSt5tupleIJfEEEEDaOT_OT0_.uses_vcc)
	.set _ZN2at6native29vectorized_elementwise_kernelILi16EZZZNS0_12_GLOBAL__N_121bessel_j1_kernel_cudaERNS_18TensorIteratorBaseEENKUlvE_clEvENKUlvE0_clEvEUlfE_St5arrayIPcLm2EEEEviT0_T1_.uses_flat_scratch, or(0, .L_ZN3c104guts5applyIRZZZN2at6native12_GLOBAL__N_121bessel_j1_kernel_cudaERNS2_18TensorIteratorBaseEENKUlvE_clEvENKUlvE0_clEvEUlfE_RSt5tupleIJfEEEEDaOT_OT0_.uses_flat_scratch)
	.set _ZN2at6native29vectorized_elementwise_kernelILi16EZZZNS0_12_GLOBAL__N_121bessel_j1_kernel_cudaERNS_18TensorIteratorBaseEENKUlvE_clEvENKUlvE0_clEvEUlfE_St5arrayIPcLm2EEEEviT0_T1_.has_dyn_sized_stack, or(0, .L_ZN3c104guts5applyIRZZZN2at6native12_GLOBAL__N_121bessel_j1_kernel_cudaERNS2_18TensorIteratorBaseEENKUlvE_clEvENKUlvE0_clEvEUlfE_RSt5tupleIJfEEEEDaOT_OT0_.has_dyn_sized_stack)
	.set _ZN2at6native29vectorized_elementwise_kernelILi16EZZZNS0_12_GLOBAL__N_121bessel_j1_kernel_cudaERNS_18TensorIteratorBaseEENKUlvE_clEvENKUlvE0_clEvEUlfE_St5arrayIPcLm2EEEEviT0_T1_.has_recursion, or(0, .L_ZN3c104guts5applyIRZZZN2at6native12_GLOBAL__N_121bessel_j1_kernel_cudaERNS2_18TensorIteratorBaseEENKUlvE_clEvENKUlvE0_clEvEUlfE_RSt5tupleIJfEEEEDaOT_OT0_.has_recursion)
	.set _ZN2at6native29vectorized_elementwise_kernelILi16EZZZNS0_12_GLOBAL__N_121bessel_j1_kernel_cudaERNS_18TensorIteratorBaseEENKUlvE_clEvENKUlvE0_clEvEUlfE_St5arrayIPcLm2EEEEviT0_T1_.has_indirect_call, or(0, .L_ZN3c104guts5applyIRZZZN2at6native12_GLOBAL__N_121bessel_j1_kernel_cudaERNS2_18TensorIteratorBaseEENKUlvE_clEvENKUlvE0_clEvEUlfE_RSt5tupleIJfEEEEDaOT_OT0_.has_indirect_call)
	.section	.AMDGPU.csdata,"",@progbits
; Kernel info:
; codeLenInByte = 1072
; TotalNumSgprs: 35
; NumVgprs: 42
; ScratchSize: 0
; MemoryBound: 0
; FloatMode: 240
; IeeeMode: 1
; LDSByteSize: 0 bytes/workgroup (compile time only)
; SGPRBlocks: 0
; VGPRBlocks: 5
; NumSGPRsForWavesPerEU: 35
; NumVGPRsForWavesPerEU: 42
; Occupancy: 16
; WaveLimiterHint : 0
; COMPUTE_PGM_RSRC2:SCRATCH_EN: 0
; COMPUTE_PGM_RSRC2:USER_SGPR: 6
; COMPUTE_PGM_RSRC2:TRAP_HANDLER: 0
; COMPUTE_PGM_RSRC2:TGID_X_EN: 1
; COMPUTE_PGM_RSRC2:TGID_Y_EN: 0
; COMPUTE_PGM_RSRC2:TGID_Z_EN: 0
; COMPUTE_PGM_RSRC2:TIDIG_COMP_CNT: 0
	.section	.text._ZN2at6native29vectorized_elementwise_kernelILi8EZZZNS0_12_GLOBAL__N_121bessel_j1_kernel_cudaERNS_18TensorIteratorBaseEENKUlvE_clEvENKUlvE0_clEvEUlfE_St5arrayIPcLm2EEEEviT0_T1_,"axG",@progbits,_ZN2at6native29vectorized_elementwise_kernelILi8EZZZNS0_12_GLOBAL__N_121bessel_j1_kernel_cudaERNS_18TensorIteratorBaseEENKUlvE_clEvENKUlvE0_clEvEUlfE_St5arrayIPcLm2EEEEviT0_T1_,comdat
	.globl	_ZN2at6native29vectorized_elementwise_kernelILi8EZZZNS0_12_GLOBAL__N_121bessel_j1_kernel_cudaERNS_18TensorIteratorBaseEENKUlvE_clEvENKUlvE0_clEvEUlfE_St5arrayIPcLm2EEEEviT0_T1_ ; -- Begin function _ZN2at6native29vectorized_elementwise_kernelILi8EZZZNS0_12_GLOBAL__N_121bessel_j1_kernel_cudaERNS_18TensorIteratorBaseEENKUlvE_clEvENKUlvE0_clEvEUlfE_St5arrayIPcLm2EEEEviT0_T1_
	.p2align	8
	.type	_ZN2at6native29vectorized_elementwise_kernelILi8EZZZNS0_12_GLOBAL__N_121bessel_j1_kernel_cudaERNS_18TensorIteratorBaseEENKUlvE_clEvENKUlvE0_clEvEUlfE_St5arrayIPcLm2EEEEviT0_T1_,@function
_ZN2at6native29vectorized_elementwise_kernelILi8EZZZNS0_12_GLOBAL__N_121bessel_j1_kernel_cudaERNS_18TensorIteratorBaseEENKUlvE_clEvENKUlvE0_clEvEUlfE_St5arrayIPcLm2EEEEviT0_T1_: ; @_ZN2at6native29vectorized_elementwise_kernelILi8EZZZNS0_12_GLOBAL__N_121bessel_j1_kernel_cudaERNS_18TensorIteratorBaseEENKUlvE_clEvENKUlvE0_clEvEUlfE_St5arrayIPcLm2EEEEviT0_T1_
; %bb.0:
	s_add_u32 s0, s0, s7
	s_clause 0x1
	s_load_dword s7, s[4:5], 0x0
	s_load_dwordx4 s[12:15], s[4:5], 0x8
	s_addc_u32 s1, s1, 0
	s_lshl_b32 s16, s6, 10
	v_mov_b32_e32 v31, v0
	s_mov_b32 s4, -1
	s_mov_b32 s32, 0
	s_waitcnt lgkmcnt(0)
	s_sub_i32 s11, s7, s16
	s_cmpk_gt_i32 s11, 0x3ff
	s_cbranch_scc0 .LBB11_2
; %bb.1:
	s_ashr_i32 s17, s16, 31
	v_lshlrev_b32_e32 v36, 4, v31
	s_lshl_b64 s[18:19], s[16:17], 2
	s_add_u32 s4, s14, s18
	s_addc_u32 s5, s15, s19
	s_getpc_b64 s[20:21]
	s_add_u32 s20, s20, _ZN3c104guts5applyIRZZZN2at6native12_GLOBAL__N_121bessel_j1_kernel_cudaERNS2_18TensorIteratorBaseEENKUlvE_clEvENKUlvE0_clEvEUlfE_RSt5tupleIJfEEEEDaOT_OT0_@rel32@lo+4
	s_addc_u32 s21, s21, _ZN3c104guts5applyIRZZZN2at6native12_GLOBAL__N_121bessel_j1_kernel_cudaERNS2_18TensorIteratorBaseEENKUlvE_clEvENKUlvE0_clEvEUlfE_RSt5tupleIJfEEEEDaOT_OT0_@rel32@hi+12
	global_load_dwordx4 v[32:35], v36, s[4:5]
	s_waitcnt vmcnt(0)
	v_mov_b32_e32 v0, v32
	s_swappc_b64 s[30:31], s[20:21]
	v_mov_b32_e32 v32, v0
	v_mov_b32_e32 v0, v33
	s_swappc_b64 s[30:31], s[20:21]
	v_mov_b32_e32 v33, v0
	;; [unrolled: 3-line block ×4, first 2 shown]
	s_add_u32 s6, s12, s18
	s_addc_u32 s7, s13, s19
	s_mov_b32 s4, 0
	global_store_dwordx4 v36, v[32:35], s[6:7]
.LBB11_2:
	s_andn2_b32 vcc_lo, exec_lo, s4
	s_cbranch_vccnz .LBB11_23
; %bb.3:
	v_cmp_gt_i32_e64 s10, s11, v31
	v_mov_b32_e32 v32, 0
	v_or_b32_e32 v39, s16, v31
	v_or_b32_e32 v41, 0x100, v31
	v_mov_b32_e32 v0, 0
	v_mov_b32_e32 v1, v31
	s_and_saveexec_b32 s4, s10
	s_cbranch_execz .LBB11_5
; %bb.4:
	v_mov_b32_e32 v40, 0
	v_lshlrev_b64 v[0:1], 2, v[39:40]
	v_add_co_u32 v0, vcc_lo, s14, v0
	v_add_co_ci_u32_e64 v1, null, s15, v1, vcc_lo
	global_load_dword v0, v[0:1], off
	v_or_b32_e32 v1, 0x100, v31
.LBB11_5:
	s_or_b32 exec_lo, exec_lo, s4
	s_mov_b32 s4, exec_lo
	v_cmpx_gt_i32_e64 s11, v1
	s_cbranch_execz .LBB11_7
; %bb.6:
	v_add_nc_u32_e32 v2, s16, v1
	v_mov_b32_e32 v3, 0
	v_add_nc_u32_e32 v1, 0x100, v1
	v_lshlrev_b64 v[2:3], 2, v[2:3]
	v_add_co_u32 v2, vcc_lo, s14, v2
	v_add_co_ci_u32_e64 v3, null, s15, v3, vcc_lo
	global_load_dword v32, v[2:3], off
.LBB11_7:
	s_or_b32 exec_lo, exec_lo, s4
	v_mov_b32_e32 v33, 0
	v_mov_b32_e32 v34, 0
	s_mov_b32 s4, exec_lo
	v_cmpx_gt_i32_e64 s11, v1
	s_cbranch_execz .LBB11_9
; %bb.8:
	v_add_nc_u32_e32 v2, s16, v1
	v_mov_b32_e32 v3, 0
	v_add_nc_u32_e32 v1, 0x100, v1
	v_lshlrev_b64 v[2:3], 2, v[2:3]
	v_add_co_u32 v2, vcc_lo, s14, v2
	v_add_co_ci_u32_e64 v3, null, s15, v3, vcc_lo
	global_load_dword v34, v[2:3], off
.LBB11_9:
	s_or_b32 exec_lo, exec_lo, s4
	s_mov_b32 s4, exec_lo
	v_cmpx_gt_i32_e64 s11, v1
	s_cbranch_execz .LBB11_11
; %bb.10:
	v_add_nc_u32_e32 v1, s16, v1
	v_mov_b32_e32 v2, 0
	v_lshlrev_b64 v[1:2], 2, v[1:2]
	v_add_co_u32 v1, vcc_lo, s14, v1
	v_add_co_ci_u32_e64 v2, null, s15, v2, vcc_lo
	global_load_dword v33, v[1:2], off
.LBB11_11:
	s_or_b32 exec_lo, exec_lo, s4
	v_mov_b32_e32 v35, 0
	v_mov_b32_e32 v36, v35
	;; [unrolled: 1-line block ×4, first 2 shown]
	s_and_saveexec_b32 s14, s10
	s_cbranch_execz .LBB11_13
; %bb.12:
	s_getpc_b64 s[4:5]
	s_add_u32 s4, s4, _ZN3c104guts5applyIRZZZN2at6native12_GLOBAL__N_121bessel_j1_kernel_cudaERNS2_18TensorIteratorBaseEENKUlvE_clEvENKUlvE0_clEvEUlfE_RSt5tupleIJfEEEEDaOT_OT0_@rel32@lo+4
	s_addc_u32 s5, s5, _ZN3c104guts5applyIRZZZN2at6native12_GLOBAL__N_121bessel_j1_kernel_cudaERNS2_18TensorIteratorBaseEENKUlvE_clEvENKUlvE0_clEvEUlfE_RSt5tupleIJfEEEEDaOT_OT0_@rel32@hi+12
	s_swappc_b64 s[30:31], s[4:5]
	v_mov_b32_e32 v3, v35
	v_mov_b32_e32 v1, v35
	;; [unrolled: 1-line block ×7, first 2 shown]
.LBB11_13:
	s_or_b32 exec_lo, exec_lo, s14
	s_mov_b32 s14, exec_lo
	v_cmpx_gt_i32_e64 s11, v41
	s_cbranch_execz .LBB11_15
; %bb.14:
	s_waitcnt vmcnt(0)
	v_mov_b32_e32 v0, v32
	s_getpc_b64 s[4:5]
	s_add_u32 s4, s4, _ZN3c104guts5applyIRZZZN2at6native12_GLOBAL__N_121bessel_j1_kernel_cudaERNS2_18TensorIteratorBaseEENKUlvE_clEvENKUlvE0_clEvEUlfE_RSt5tupleIJfEEEEDaOT_OT0_@rel32@lo+4
	s_addc_u32 s5, s5, _ZN3c104guts5applyIRZZZN2at6native12_GLOBAL__N_121bessel_j1_kernel_cudaERNS2_18TensorIteratorBaseEENKUlvE_clEvENKUlvE0_clEvEUlfE_RSt5tupleIJfEEEEDaOT_OT0_@rel32@hi+12
	s_swappc_b64 s[30:31], s[4:5]
	v_mov_b32_e32 v36, v0
.LBB11_15:
	s_or_b32 exec_lo, exec_lo, s14
	s_waitcnt vmcnt(0)
	v_or_b32_e32 v0, 0x200, v31
	s_mov_b32 s14, exec_lo
	v_cmpx_gt_i32_e64 s11, v0
	s_cbranch_execz .LBB11_17
; %bb.16:
	v_mov_b32_e32 v0, v34
	s_getpc_b64 s[4:5]
	s_add_u32 s4, s4, _ZN3c104guts5applyIRZZZN2at6native12_GLOBAL__N_121bessel_j1_kernel_cudaERNS2_18TensorIteratorBaseEENKUlvE_clEvENKUlvE0_clEvEUlfE_RSt5tupleIJfEEEEDaOT_OT0_@rel32@lo+4
	s_addc_u32 s5, s5, _ZN3c104guts5applyIRZZZN2at6native12_GLOBAL__N_121bessel_j1_kernel_cudaERNS2_18TensorIteratorBaseEENKUlvE_clEvENKUlvE0_clEvEUlfE_RSt5tupleIJfEEEEDaOT_OT0_@rel32@hi+12
	s_swappc_b64 s[30:31], s[4:5]
	v_mov_b32_e32 v37, v0
.LBB11_17:
	s_or_b32 exec_lo, exec_lo, s14
	v_or_b32_e32 v0, 0x300, v31
	s_mov_b32 s14, exec_lo
	v_cmpx_gt_i32_e64 s11, v0
	s_cbranch_execnz .LBB11_24
; %bb.18:
	s_or_b32 exec_lo, exec_lo, s14
	s_and_saveexec_b32 s4, s10
	s_xor_b32 s4, exec_lo, s4
	s_cbranch_execnz .LBB11_25
.LBB11_19:
	s_or_b32 exec_lo, exec_lo, s4
	s_mov_b32 s4, exec_lo
	v_cmpx_gt_i32_e64 s11, v31
	s_cbranch_execnz .LBB11_26
.LBB11_20:
	s_or_b32 exec_lo, exec_lo, s4
	s_mov_b32 s4, exec_lo
	v_cmpx_gt_i32_e64 s11, v31
	s_cbranch_execnz .LBB11_27
.LBB11_21:
	s_or_b32 exec_lo, exec_lo, s4
	s_mov_b32 s4, exec_lo
	v_cmpx_gt_i32_e64 s11, v31
	s_cbranch_execz .LBB11_23
.LBB11_22:
	v_add_nc_u32_e32 v0, s16, v31
	v_mov_b32_e32 v1, 0
	v_lshlrev_b64 v[0:1], 2, v[0:1]
	v_add_co_u32 v0, vcc_lo, s12, v0
	v_add_co_ci_u32_e64 v1, null, s13, v1, vcc_lo
	global_store_dword v[0:1], v38, off
.LBB11_23:
	s_endpgm
.LBB11_24:
	v_mov_b32_e32 v0, v33
	s_getpc_b64 s[4:5]
	s_add_u32 s4, s4, _ZN3c104guts5applyIRZZZN2at6native12_GLOBAL__N_121bessel_j1_kernel_cudaERNS2_18TensorIteratorBaseEENKUlvE_clEvENKUlvE0_clEvEUlfE_RSt5tupleIJfEEEEDaOT_OT0_@rel32@lo+4
	s_addc_u32 s5, s5, _ZN3c104guts5applyIRZZZN2at6native12_GLOBAL__N_121bessel_j1_kernel_cudaERNS2_18TensorIteratorBaseEENKUlvE_clEvENKUlvE0_clEvEUlfE_RSt5tupleIJfEEEEDaOT_OT0_@rel32@hi+12
	s_swappc_b64 s[30:31], s[4:5]
	v_mov_b32_e32 v38, v0
	s_or_b32 exec_lo, exec_lo, s14
	s_and_saveexec_b32 s4, s10
	s_xor_b32 s4, exec_lo, s4
	s_cbranch_execz .LBB11_19
.LBB11_25:
	v_mov_b32_e32 v40, 0
	v_mov_b32_e32 v31, v41
	v_lshlrev_b64 v[0:1], 2, v[39:40]
	v_add_co_u32 v0, vcc_lo, s12, v0
	v_add_co_ci_u32_e64 v1, null, s13, v1, vcc_lo
	global_store_dword v[0:1], v35, off
	s_or_b32 exec_lo, exec_lo, s4
	s_mov_b32 s4, exec_lo
	v_cmpx_gt_i32_e64 s11, v31
	s_cbranch_execz .LBB11_20
.LBB11_26:
	v_add_nc_u32_e32 v0, s16, v31
	v_mov_b32_e32 v1, 0
	v_add_nc_u32_e32 v31, 0x100, v31
	v_lshlrev_b64 v[0:1], 2, v[0:1]
	v_add_co_u32 v0, vcc_lo, s12, v0
	v_add_co_ci_u32_e64 v1, null, s13, v1, vcc_lo
	global_store_dword v[0:1], v36, off
	s_or_b32 exec_lo, exec_lo, s4
	s_mov_b32 s4, exec_lo
	v_cmpx_gt_i32_e64 s11, v31
	s_cbranch_execz .LBB11_21
.LBB11_27:
	v_add_nc_u32_e32 v0, s16, v31
	v_mov_b32_e32 v1, 0
	v_add_nc_u32_e32 v31, 0x100, v31
	v_lshlrev_b64 v[0:1], 2, v[0:1]
	v_add_co_u32 v0, vcc_lo, s12, v0
	v_add_co_ci_u32_e64 v1, null, s13, v1, vcc_lo
	global_store_dword v[0:1], v37, off
	s_or_b32 exec_lo, exec_lo, s4
	s_mov_b32 s4, exec_lo
	v_cmpx_gt_i32_e64 s11, v31
	s_cbranch_execnz .LBB11_22
	s_branch .LBB11_23
	.section	.rodata,"a",@progbits
	.p2align	6, 0x0
	.amdhsa_kernel _ZN2at6native29vectorized_elementwise_kernelILi8EZZZNS0_12_GLOBAL__N_121bessel_j1_kernel_cudaERNS_18TensorIteratorBaseEENKUlvE_clEvENKUlvE0_clEvEUlfE_St5arrayIPcLm2EEEEviT0_T1_
		.amdhsa_group_segment_fixed_size 0
		.amdhsa_private_segment_fixed_size 0
		.amdhsa_kernarg_size 24
		.amdhsa_user_sgpr_count 6
		.amdhsa_user_sgpr_private_segment_buffer 1
		.amdhsa_user_sgpr_dispatch_ptr 0
		.amdhsa_user_sgpr_queue_ptr 0
		.amdhsa_user_sgpr_kernarg_segment_ptr 1
		.amdhsa_user_sgpr_dispatch_id 0
		.amdhsa_user_sgpr_flat_scratch_init 0
		.amdhsa_user_sgpr_private_segment_size 0
		.amdhsa_wavefront_size32 1
		.amdhsa_uses_dynamic_stack 0
		.amdhsa_system_sgpr_private_segment_wavefront_offset 0
		.amdhsa_system_sgpr_workgroup_id_x 1
		.amdhsa_system_sgpr_workgroup_id_y 0
		.amdhsa_system_sgpr_workgroup_id_z 0
		.amdhsa_system_sgpr_workgroup_info 0
		.amdhsa_system_vgpr_workitem_id 0
		.amdhsa_next_free_vgpr 42
		.amdhsa_next_free_sgpr 33
		.amdhsa_reserve_vcc 1
		.amdhsa_reserve_flat_scratch 0
		.amdhsa_float_round_mode_32 0
		.amdhsa_float_round_mode_16_64 0
		.amdhsa_float_denorm_mode_32 3
		.amdhsa_float_denorm_mode_16_64 3
		.amdhsa_dx10_clamp 1
		.amdhsa_ieee_mode 1
		.amdhsa_fp16_overflow 0
		.amdhsa_workgroup_processor_mode 1
		.amdhsa_memory_ordered 1
		.amdhsa_forward_progress 1
		.amdhsa_shared_vgpr_count 0
		.amdhsa_exception_fp_ieee_invalid_op 0
		.amdhsa_exception_fp_denorm_src 0
		.amdhsa_exception_fp_ieee_div_zero 0
		.amdhsa_exception_fp_ieee_overflow 0
		.amdhsa_exception_fp_ieee_underflow 0
		.amdhsa_exception_fp_ieee_inexact 0
		.amdhsa_exception_int_div_zero 0
	.end_amdhsa_kernel
	.section	.text._ZN2at6native29vectorized_elementwise_kernelILi8EZZZNS0_12_GLOBAL__N_121bessel_j1_kernel_cudaERNS_18TensorIteratorBaseEENKUlvE_clEvENKUlvE0_clEvEUlfE_St5arrayIPcLm2EEEEviT0_T1_,"axG",@progbits,_ZN2at6native29vectorized_elementwise_kernelILi8EZZZNS0_12_GLOBAL__N_121bessel_j1_kernel_cudaERNS_18TensorIteratorBaseEENKUlvE_clEvENKUlvE0_clEvEUlfE_St5arrayIPcLm2EEEEviT0_T1_,comdat
.Lfunc_end11:
	.size	_ZN2at6native29vectorized_elementwise_kernelILi8EZZZNS0_12_GLOBAL__N_121bessel_j1_kernel_cudaERNS_18TensorIteratorBaseEENKUlvE_clEvENKUlvE0_clEvEUlfE_St5arrayIPcLm2EEEEviT0_T1_, .Lfunc_end11-_ZN2at6native29vectorized_elementwise_kernelILi8EZZZNS0_12_GLOBAL__N_121bessel_j1_kernel_cudaERNS_18TensorIteratorBaseEENKUlvE_clEvENKUlvE0_clEvEUlfE_St5arrayIPcLm2EEEEviT0_T1_
                                        ; -- End function
	.set _ZN2at6native29vectorized_elementwise_kernelILi8EZZZNS0_12_GLOBAL__N_121bessel_j1_kernel_cudaERNS_18TensorIteratorBaseEENKUlvE_clEvENKUlvE0_clEvEUlfE_St5arrayIPcLm2EEEEviT0_T1_.num_vgpr, max(42, .L_ZN3c104guts5applyIRZZZN2at6native12_GLOBAL__N_121bessel_j1_kernel_cudaERNS2_18TensorIteratorBaseEENKUlvE_clEvENKUlvE0_clEvEUlfE_RSt5tupleIJfEEEEDaOT_OT0_.num_vgpr)
	.set _ZN2at6native29vectorized_elementwise_kernelILi8EZZZNS0_12_GLOBAL__N_121bessel_j1_kernel_cudaERNS_18TensorIteratorBaseEENKUlvE_clEvENKUlvE0_clEvEUlfE_St5arrayIPcLm2EEEEviT0_T1_.num_agpr, max(0, .L_ZN3c104guts5applyIRZZZN2at6native12_GLOBAL__N_121bessel_j1_kernel_cudaERNS2_18TensorIteratorBaseEENKUlvE_clEvENKUlvE0_clEvEUlfE_RSt5tupleIJfEEEEDaOT_OT0_.num_agpr)
	.set _ZN2at6native29vectorized_elementwise_kernelILi8EZZZNS0_12_GLOBAL__N_121bessel_j1_kernel_cudaERNS_18TensorIteratorBaseEENKUlvE_clEvENKUlvE0_clEvEUlfE_St5arrayIPcLm2EEEEviT0_T1_.numbered_sgpr, max(33, .L_ZN3c104guts5applyIRZZZN2at6native12_GLOBAL__N_121bessel_j1_kernel_cudaERNS2_18TensorIteratorBaseEENKUlvE_clEvENKUlvE0_clEvEUlfE_RSt5tupleIJfEEEEDaOT_OT0_.numbered_sgpr)
	.set _ZN2at6native29vectorized_elementwise_kernelILi8EZZZNS0_12_GLOBAL__N_121bessel_j1_kernel_cudaERNS_18TensorIteratorBaseEENKUlvE_clEvENKUlvE0_clEvEUlfE_St5arrayIPcLm2EEEEviT0_T1_.num_named_barrier, max(0, .L_ZN3c104guts5applyIRZZZN2at6native12_GLOBAL__N_121bessel_j1_kernel_cudaERNS2_18TensorIteratorBaseEENKUlvE_clEvENKUlvE0_clEvEUlfE_RSt5tupleIJfEEEEDaOT_OT0_.num_named_barrier)
	.set _ZN2at6native29vectorized_elementwise_kernelILi8EZZZNS0_12_GLOBAL__N_121bessel_j1_kernel_cudaERNS_18TensorIteratorBaseEENKUlvE_clEvENKUlvE0_clEvEUlfE_St5arrayIPcLm2EEEEviT0_T1_.private_seg_size, 0+max(.L_ZN3c104guts5applyIRZZZN2at6native12_GLOBAL__N_121bessel_j1_kernel_cudaERNS2_18TensorIteratorBaseEENKUlvE_clEvENKUlvE0_clEvEUlfE_RSt5tupleIJfEEEEDaOT_OT0_.private_seg_size)
	.set _ZN2at6native29vectorized_elementwise_kernelILi8EZZZNS0_12_GLOBAL__N_121bessel_j1_kernel_cudaERNS_18TensorIteratorBaseEENKUlvE_clEvENKUlvE0_clEvEUlfE_St5arrayIPcLm2EEEEviT0_T1_.uses_vcc, or(1, .L_ZN3c104guts5applyIRZZZN2at6native12_GLOBAL__N_121bessel_j1_kernel_cudaERNS2_18TensorIteratorBaseEENKUlvE_clEvENKUlvE0_clEvEUlfE_RSt5tupleIJfEEEEDaOT_OT0_.uses_vcc)
	.set _ZN2at6native29vectorized_elementwise_kernelILi8EZZZNS0_12_GLOBAL__N_121bessel_j1_kernel_cudaERNS_18TensorIteratorBaseEENKUlvE_clEvENKUlvE0_clEvEUlfE_St5arrayIPcLm2EEEEviT0_T1_.uses_flat_scratch, or(0, .L_ZN3c104guts5applyIRZZZN2at6native12_GLOBAL__N_121bessel_j1_kernel_cudaERNS2_18TensorIteratorBaseEENKUlvE_clEvENKUlvE0_clEvEUlfE_RSt5tupleIJfEEEEDaOT_OT0_.uses_flat_scratch)
	.set _ZN2at6native29vectorized_elementwise_kernelILi8EZZZNS0_12_GLOBAL__N_121bessel_j1_kernel_cudaERNS_18TensorIteratorBaseEENKUlvE_clEvENKUlvE0_clEvEUlfE_St5arrayIPcLm2EEEEviT0_T1_.has_dyn_sized_stack, or(0, .L_ZN3c104guts5applyIRZZZN2at6native12_GLOBAL__N_121bessel_j1_kernel_cudaERNS2_18TensorIteratorBaseEENKUlvE_clEvENKUlvE0_clEvEUlfE_RSt5tupleIJfEEEEDaOT_OT0_.has_dyn_sized_stack)
	.set _ZN2at6native29vectorized_elementwise_kernelILi8EZZZNS0_12_GLOBAL__N_121bessel_j1_kernel_cudaERNS_18TensorIteratorBaseEENKUlvE_clEvENKUlvE0_clEvEUlfE_St5arrayIPcLm2EEEEviT0_T1_.has_recursion, or(0, .L_ZN3c104guts5applyIRZZZN2at6native12_GLOBAL__N_121bessel_j1_kernel_cudaERNS2_18TensorIteratorBaseEENKUlvE_clEvENKUlvE0_clEvEUlfE_RSt5tupleIJfEEEEDaOT_OT0_.has_recursion)
	.set _ZN2at6native29vectorized_elementwise_kernelILi8EZZZNS0_12_GLOBAL__N_121bessel_j1_kernel_cudaERNS_18TensorIteratorBaseEENKUlvE_clEvENKUlvE0_clEvEUlfE_St5arrayIPcLm2EEEEviT0_T1_.has_indirect_call, or(0, .L_ZN3c104guts5applyIRZZZN2at6native12_GLOBAL__N_121bessel_j1_kernel_cudaERNS2_18TensorIteratorBaseEENKUlvE_clEvENKUlvE0_clEvEUlfE_RSt5tupleIJfEEEEDaOT_OT0_.has_indirect_call)
	.section	.AMDGPU.csdata,"",@progbits
; Kernel info:
; codeLenInByte = 1072
; TotalNumSgprs: 35
; NumVgprs: 42
; ScratchSize: 0
; MemoryBound: 0
; FloatMode: 240
; IeeeMode: 1
; LDSByteSize: 0 bytes/workgroup (compile time only)
; SGPRBlocks: 0
; VGPRBlocks: 5
; NumSGPRsForWavesPerEU: 35
; NumVGPRsForWavesPerEU: 42
; Occupancy: 16
; WaveLimiterHint : 0
; COMPUTE_PGM_RSRC2:SCRATCH_EN: 0
; COMPUTE_PGM_RSRC2:USER_SGPR: 6
; COMPUTE_PGM_RSRC2:TRAP_HANDLER: 0
; COMPUTE_PGM_RSRC2:TGID_X_EN: 1
; COMPUTE_PGM_RSRC2:TGID_Y_EN: 0
; COMPUTE_PGM_RSRC2:TGID_Z_EN: 0
; COMPUTE_PGM_RSRC2:TIDIG_COMP_CNT: 0
	.section	.text._ZN2at6native29vectorized_elementwise_kernelILi4EZZZNS0_12_GLOBAL__N_121bessel_j1_kernel_cudaERNS_18TensorIteratorBaseEENKUlvE_clEvENKUlvE0_clEvEUlfE_St5arrayIPcLm2EEEEviT0_T1_,"axG",@progbits,_ZN2at6native29vectorized_elementwise_kernelILi4EZZZNS0_12_GLOBAL__N_121bessel_j1_kernel_cudaERNS_18TensorIteratorBaseEENKUlvE_clEvENKUlvE0_clEvEUlfE_St5arrayIPcLm2EEEEviT0_T1_,comdat
	.globl	_ZN2at6native29vectorized_elementwise_kernelILi4EZZZNS0_12_GLOBAL__N_121bessel_j1_kernel_cudaERNS_18TensorIteratorBaseEENKUlvE_clEvENKUlvE0_clEvEUlfE_St5arrayIPcLm2EEEEviT0_T1_ ; -- Begin function _ZN2at6native29vectorized_elementwise_kernelILi4EZZZNS0_12_GLOBAL__N_121bessel_j1_kernel_cudaERNS_18TensorIteratorBaseEENKUlvE_clEvENKUlvE0_clEvEUlfE_St5arrayIPcLm2EEEEviT0_T1_
	.p2align	8
	.type	_ZN2at6native29vectorized_elementwise_kernelILi4EZZZNS0_12_GLOBAL__N_121bessel_j1_kernel_cudaERNS_18TensorIteratorBaseEENKUlvE_clEvENKUlvE0_clEvEUlfE_St5arrayIPcLm2EEEEviT0_T1_,@function
_ZN2at6native29vectorized_elementwise_kernelILi4EZZZNS0_12_GLOBAL__N_121bessel_j1_kernel_cudaERNS_18TensorIteratorBaseEENKUlvE_clEvENKUlvE0_clEvEUlfE_St5arrayIPcLm2EEEEviT0_T1_: ; @_ZN2at6native29vectorized_elementwise_kernelILi4EZZZNS0_12_GLOBAL__N_121bessel_j1_kernel_cudaERNS_18TensorIteratorBaseEENKUlvE_clEvENKUlvE0_clEvEUlfE_St5arrayIPcLm2EEEEviT0_T1_
; %bb.0:
	s_add_u32 s0, s0, s7
	s_clause 0x1
	s_load_dword s7, s[4:5], 0x0
	s_load_dwordx4 s[12:15], s[4:5], 0x8
	s_addc_u32 s1, s1, 0
	s_lshl_b32 s16, s6, 10
	v_mov_b32_e32 v31, v0
	s_mov_b32 s4, -1
	s_mov_b32 s32, 0
	s_waitcnt lgkmcnt(0)
	s_sub_i32 s11, s7, s16
	s_cmpk_gt_i32 s11, 0x3ff
	s_cbranch_scc0 .LBB12_2
; %bb.1:
	s_ashr_i32 s17, s16, 31
	v_lshlrev_b32_e32 v36, 4, v31
	s_lshl_b64 s[18:19], s[16:17], 2
	s_add_u32 s4, s14, s18
	s_addc_u32 s5, s15, s19
	s_getpc_b64 s[20:21]
	s_add_u32 s20, s20, _ZN3c104guts5applyIRZZZN2at6native12_GLOBAL__N_121bessel_j1_kernel_cudaERNS2_18TensorIteratorBaseEENKUlvE_clEvENKUlvE0_clEvEUlfE_RSt5tupleIJfEEEEDaOT_OT0_@rel32@lo+4
	s_addc_u32 s21, s21, _ZN3c104guts5applyIRZZZN2at6native12_GLOBAL__N_121bessel_j1_kernel_cudaERNS2_18TensorIteratorBaseEENKUlvE_clEvENKUlvE0_clEvEUlfE_RSt5tupleIJfEEEEDaOT_OT0_@rel32@hi+12
	global_load_dwordx4 v[32:35], v36, s[4:5]
	s_waitcnt vmcnt(0)
	v_mov_b32_e32 v0, v32
	s_swappc_b64 s[30:31], s[20:21]
	v_mov_b32_e32 v32, v0
	v_mov_b32_e32 v0, v33
	s_swappc_b64 s[30:31], s[20:21]
	v_mov_b32_e32 v33, v0
	;; [unrolled: 3-line block ×4, first 2 shown]
	s_add_u32 s6, s12, s18
	s_addc_u32 s7, s13, s19
	s_mov_b32 s4, 0
	global_store_dwordx4 v36, v[32:35], s[6:7]
.LBB12_2:
	s_andn2_b32 vcc_lo, exec_lo, s4
	s_cbranch_vccnz .LBB12_23
; %bb.3:
	v_cmp_gt_i32_e64 s10, s11, v31
	v_mov_b32_e32 v32, 0
	v_or_b32_e32 v39, s16, v31
	v_or_b32_e32 v41, 0x100, v31
	v_mov_b32_e32 v0, 0
	v_mov_b32_e32 v1, v31
	s_and_saveexec_b32 s4, s10
	s_cbranch_execz .LBB12_5
; %bb.4:
	v_mov_b32_e32 v40, 0
	v_lshlrev_b64 v[0:1], 2, v[39:40]
	v_add_co_u32 v0, vcc_lo, s14, v0
	v_add_co_ci_u32_e64 v1, null, s15, v1, vcc_lo
	global_load_dword v0, v[0:1], off
	v_or_b32_e32 v1, 0x100, v31
.LBB12_5:
	s_or_b32 exec_lo, exec_lo, s4
	s_mov_b32 s4, exec_lo
	v_cmpx_gt_i32_e64 s11, v1
	s_cbranch_execz .LBB12_7
; %bb.6:
	v_add_nc_u32_e32 v2, s16, v1
	v_mov_b32_e32 v3, 0
	v_add_nc_u32_e32 v1, 0x100, v1
	v_lshlrev_b64 v[2:3], 2, v[2:3]
	v_add_co_u32 v2, vcc_lo, s14, v2
	v_add_co_ci_u32_e64 v3, null, s15, v3, vcc_lo
	global_load_dword v32, v[2:3], off
.LBB12_7:
	s_or_b32 exec_lo, exec_lo, s4
	v_mov_b32_e32 v33, 0
	v_mov_b32_e32 v34, 0
	s_mov_b32 s4, exec_lo
	v_cmpx_gt_i32_e64 s11, v1
	s_cbranch_execz .LBB12_9
; %bb.8:
	v_add_nc_u32_e32 v2, s16, v1
	v_mov_b32_e32 v3, 0
	v_add_nc_u32_e32 v1, 0x100, v1
	v_lshlrev_b64 v[2:3], 2, v[2:3]
	v_add_co_u32 v2, vcc_lo, s14, v2
	v_add_co_ci_u32_e64 v3, null, s15, v3, vcc_lo
	global_load_dword v34, v[2:3], off
.LBB12_9:
	s_or_b32 exec_lo, exec_lo, s4
	s_mov_b32 s4, exec_lo
	v_cmpx_gt_i32_e64 s11, v1
	s_cbranch_execz .LBB12_11
; %bb.10:
	v_add_nc_u32_e32 v1, s16, v1
	v_mov_b32_e32 v2, 0
	v_lshlrev_b64 v[1:2], 2, v[1:2]
	v_add_co_u32 v1, vcc_lo, s14, v1
	v_add_co_ci_u32_e64 v2, null, s15, v2, vcc_lo
	global_load_dword v33, v[1:2], off
.LBB12_11:
	s_or_b32 exec_lo, exec_lo, s4
	v_mov_b32_e32 v35, 0
	v_mov_b32_e32 v36, v35
	;; [unrolled: 1-line block ×4, first 2 shown]
	s_and_saveexec_b32 s14, s10
	s_cbranch_execz .LBB12_13
; %bb.12:
	s_getpc_b64 s[4:5]
	s_add_u32 s4, s4, _ZN3c104guts5applyIRZZZN2at6native12_GLOBAL__N_121bessel_j1_kernel_cudaERNS2_18TensorIteratorBaseEENKUlvE_clEvENKUlvE0_clEvEUlfE_RSt5tupleIJfEEEEDaOT_OT0_@rel32@lo+4
	s_addc_u32 s5, s5, _ZN3c104guts5applyIRZZZN2at6native12_GLOBAL__N_121bessel_j1_kernel_cudaERNS2_18TensorIteratorBaseEENKUlvE_clEvENKUlvE0_clEvEUlfE_RSt5tupleIJfEEEEDaOT_OT0_@rel32@hi+12
	s_swappc_b64 s[30:31], s[4:5]
	v_mov_b32_e32 v3, v35
	v_mov_b32_e32 v1, v35
	;; [unrolled: 1-line block ×7, first 2 shown]
.LBB12_13:
	s_or_b32 exec_lo, exec_lo, s14
	s_mov_b32 s14, exec_lo
	v_cmpx_gt_i32_e64 s11, v41
	s_cbranch_execz .LBB12_15
; %bb.14:
	s_waitcnt vmcnt(0)
	v_mov_b32_e32 v0, v32
	s_getpc_b64 s[4:5]
	s_add_u32 s4, s4, _ZN3c104guts5applyIRZZZN2at6native12_GLOBAL__N_121bessel_j1_kernel_cudaERNS2_18TensorIteratorBaseEENKUlvE_clEvENKUlvE0_clEvEUlfE_RSt5tupleIJfEEEEDaOT_OT0_@rel32@lo+4
	s_addc_u32 s5, s5, _ZN3c104guts5applyIRZZZN2at6native12_GLOBAL__N_121bessel_j1_kernel_cudaERNS2_18TensorIteratorBaseEENKUlvE_clEvENKUlvE0_clEvEUlfE_RSt5tupleIJfEEEEDaOT_OT0_@rel32@hi+12
	s_swappc_b64 s[30:31], s[4:5]
	v_mov_b32_e32 v36, v0
.LBB12_15:
	s_or_b32 exec_lo, exec_lo, s14
	s_waitcnt vmcnt(0)
	v_or_b32_e32 v0, 0x200, v31
	s_mov_b32 s14, exec_lo
	v_cmpx_gt_i32_e64 s11, v0
	s_cbranch_execz .LBB12_17
; %bb.16:
	v_mov_b32_e32 v0, v34
	s_getpc_b64 s[4:5]
	s_add_u32 s4, s4, _ZN3c104guts5applyIRZZZN2at6native12_GLOBAL__N_121bessel_j1_kernel_cudaERNS2_18TensorIteratorBaseEENKUlvE_clEvENKUlvE0_clEvEUlfE_RSt5tupleIJfEEEEDaOT_OT0_@rel32@lo+4
	s_addc_u32 s5, s5, _ZN3c104guts5applyIRZZZN2at6native12_GLOBAL__N_121bessel_j1_kernel_cudaERNS2_18TensorIteratorBaseEENKUlvE_clEvENKUlvE0_clEvEUlfE_RSt5tupleIJfEEEEDaOT_OT0_@rel32@hi+12
	s_swappc_b64 s[30:31], s[4:5]
	v_mov_b32_e32 v37, v0
.LBB12_17:
	s_or_b32 exec_lo, exec_lo, s14
	v_or_b32_e32 v0, 0x300, v31
	s_mov_b32 s14, exec_lo
	v_cmpx_gt_i32_e64 s11, v0
	s_cbranch_execnz .LBB12_24
; %bb.18:
	s_or_b32 exec_lo, exec_lo, s14
	s_and_saveexec_b32 s4, s10
	s_xor_b32 s4, exec_lo, s4
	s_cbranch_execnz .LBB12_25
.LBB12_19:
	s_or_b32 exec_lo, exec_lo, s4
	s_mov_b32 s4, exec_lo
	v_cmpx_gt_i32_e64 s11, v31
	s_cbranch_execnz .LBB12_26
.LBB12_20:
	s_or_b32 exec_lo, exec_lo, s4
	s_mov_b32 s4, exec_lo
	v_cmpx_gt_i32_e64 s11, v31
	s_cbranch_execnz .LBB12_27
.LBB12_21:
	s_or_b32 exec_lo, exec_lo, s4
	s_mov_b32 s4, exec_lo
	v_cmpx_gt_i32_e64 s11, v31
	s_cbranch_execz .LBB12_23
.LBB12_22:
	v_add_nc_u32_e32 v0, s16, v31
	v_mov_b32_e32 v1, 0
	v_lshlrev_b64 v[0:1], 2, v[0:1]
	v_add_co_u32 v0, vcc_lo, s12, v0
	v_add_co_ci_u32_e64 v1, null, s13, v1, vcc_lo
	global_store_dword v[0:1], v38, off
.LBB12_23:
	s_endpgm
.LBB12_24:
	v_mov_b32_e32 v0, v33
	s_getpc_b64 s[4:5]
	s_add_u32 s4, s4, _ZN3c104guts5applyIRZZZN2at6native12_GLOBAL__N_121bessel_j1_kernel_cudaERNS2_18TensorIteratorBaseEENKUlvE_clEvENKUlvE0_clEvEUlfE_RSt5tupleIJfEEEEDaOT_OT0_@rel32@lo+4
	s_addc_u32 s5, s5, _ZN3c104guts5applyIRZZZN2at6native12_GLOBAL__N_121bessel_j1_kernel_cudaERNS2_18TensorIteratorBaseEENKUlvE_clEvENKUlvE0_clEvEUlfE_RSt5tupleIJfEEEEDaOT_OT0_@rel32@hi+12
	s_swappc_b64 s[30:31], s[4:5]
	v_mov_b32_e32 v38, v0
	s_or_b32 exec_lo, exec_lo, s14
	s_and_saveexec_b32 s4, s10
	s_xor_b32 s4, exec_lo, s4
	s_cbranch_execz .LBB12_19
.LBB12_25:
	v_mov_b32_e32 v40, 0
	v_mov_b32_e32 v31, v41
	v_lshlrev_b64 v[0:1], 2, v[39:40]
	v_add_co_u32 v0, vcc_lo, s12, v0
	v_add_co_ci_u32_e64 v1, null, s13, v1, vcc_lo
	global_store_dword v[0:1], v35, off
	s_or_b32 exec_lo, exec_lo, s4
	s_mov_b32 s4, exec_lo
	v_cmpx_gt_i32_e64 s11, v31
	s_cbranch_execz .LBB12_20
.LBB12_26:
	v_add_nc_u32_e32 v0, s16, v31
	v_mov_b32_e32 v1, 0
	v_add_nc_u32_e32 v31, 0x100, v31
	v_lshlrev_b64 v[0:1], 2, v[0:1]
	v_add_co_u32 v0, vcc_lo, s12, v0
	v_add_co_ci_u32_e64 v1, null, s13, v1, vcc_lo
	global_store_dword v[0:1], v36, off
	s_or_b32 exec_lo, exec_lo, s4
	s_mov_b32 s4, exec_lo
	v_cmpx_gt_i32_e64 s11, v31
	s_cbranch_execz .LBB12_21
.LBB12_27:
	v_add_nc_u32_e32 v0, s16, v31
	v_mov_b32_e32 v1, 0
	v_add_nc_u32_e32 v31, 0x100, v31
	v_lshlrev_b64 v[0:1], 2, v[0:1]
	v_add_co_u32 v0, vcc_lo, s12, v0
	v_add_co_ci_u32_e64 v1, null, s13, v1, vcc_lo
	global_store_dword v[0:1], v37, off
	s_or_b32 exec_lo, exec_lo, s4
	s_mov_b32 s4, exec_lo
	v_cmpx_gt_i32_e64 s11, v31
	s_cbranch_execnz .LBB12_22
	s_branch .LBB12_23
	.section	.rodata,"a",@progbits
	.p2align	6, 0x0
	.amdhsa_kernel _ZN2at6native29vectorized_elementwise_kernelILi4EZZZNS0_12_GLOBAL__N_121bessel_j1_kernel_cudaERNS_18TensorIteratorBaseEENKUlvE_clEvENKUlvE0_clEvEUlfE_St5arrayIPcLm2EEEEviT0_T1_
		.amdhsa_group_segment_fixed_size 0
		.amdhsa_private_segment_fixed_size 0
		.amdhsa_kernarg_size 24
		.amdhsa_user_sgpr_count 6
		.amdhsa_user_sgpr_private_segment_buffer 1
		.amdhsa_user_sgpr_dispatch_ptr 0
		.amdhsa_user_sgpr_queue_ptr 0
		.amdhsa_user_sgpr_kernarg_segment_ptr 1
		.amdhsa_user_sgpr_dispatch_id 0
		.amdhsa_user_sgpr_flat_scratch_init 0
		.amdhsa_user_sgpr_private_segment_size 0
		.amdhsa_wavefront_size32 1
		.amdhsa_uses_dynamic_stack 0
		.amdhsa_system_sgpr_private_segment_wavefront_offset 0
		.amdhsa_system_sgpr_workgroup_id_x 1
		.amdhsa_system_sgpr_workgroup_id_y 0
		.amdhsa_system_sgpr_workgroup_id_z 0
		.amdhsa_system_sgpr_workgroup_info 0
		.amdhsa_system_vgpr_workitem_id 0
		.amdhsa_next_free_vgpr 42
		.amdhsa_next_free_sgpr 33
		.amdhsa_reserve_vcc 1
		.amdhsa_reserve_flat_scratch 0
		.amdhsa_float_round_mode_32 0
		.amdhsa_float_round_mode_16_64 0
		.amdhsa_float_denorm_mode_32 3
		.amdhsa_float_denorm_mode_16_64 3
		.amdhsa_dx10_clamp 1
		.amdhsa_ieee_mode 1
		.amdhsa_fp16_overflow 0
		.amdhsa_workgroup_processor_mode 1
		.amdhsa_memory_ordered 1
		.amdhsa_forward_progress 1
		.amdhsa_shared_vgpr_count 0
		.amdhsa_exception_fp_ieee_invalid_op 0
		.amdhsa_exception_fp_denorm_src 0
		.amdhsa_exception_fp_ieee_div_zero 0
		.amdhsa_exception_fp_ieee_overflow 0
		.amdhsa_exception_fp_ieee_underflow 0
		.amdhsa_exception_fp_ieee_inexact 0
		.amdhsa_exception_int_div_zero 0
	.end_amdhsa_kernel
	.section	.text._ZN2at6native29vectorized_elementwise_kernelILi4EZZZNS0_12_GLOBAL__N_121bessel_j1_kernel_cudaERNS_18TensorIteratorBaseEENKUlvE_clEvENKUlvE0_clEvEUlfE_St5arrayIPcLm2EEEEviT0_T1_,"axG",@progbits,_ZN2at6native29vectorized_elementwise_kernelILi4EZZZNS0_12_GLOBAL__N_121bessel_j1_kernel_cudaERNS_18TensorIteratorBaseEENKUlvE_clEvENKUlvE0_clEvEUlfE_St5arrayIPcLm2EEEEviT0_T1_,comdat
.Lfunc_end12:
	.size	_ZN2at6native29vectorized_elementwise_kernelILi4EZZZNS0_12_GLOBAL__N_121bessel_j1_kernel_cudaERNS_18TensorIteratorBaseEENKUlvE_clEvENKUlvE0_clEvEUlfE_St5arrayIPcLm2EEEEviT0_T1_, .Lfunc_end12-_ZN2at6native29vectorized_elementwise_kernelILi4EZZZNS0_12_GLOBAL__N_121bessel_j1_kernel_cudaERNS_18TensorIteratorBaseEENKUlvE_clEvENKUlvE0_clEvEUlfE_St5arrayIPcLm2EEEEviT0_T1_
                                        ; -- End function
	.set _ZN2at6native29vectorized_elementwise_kernelILi4EZZZNS0_12_GLOBAL__N_121bessel_j1_kernel_cudaERNS_18TensorIteratorBaseEENKUlvE_clEvENKUlvE0_clEvEUlfE_St5arrayIPcLm2EEEEviT0_T1_.num_vgpr, max(42, .L_ZN3c104guts5applyIRZZZN2at6native12_GLOBAL__N_121bessel_j1_kernel_cudaERNS2_18TensorIteratorBaseEENKUlvE_clEvENKUlvE0_clEvEUlfE_RSt5tupleIJfEEEEDaOT_OT0_.num_vgpr)
	.set _ZN2at6native29vectorized_elementwise_kernelILi4EZZZNS0_12_GLOBAL__N_121bessel_j1_kernel_cudaERNS_18TensorIteratorBaseEENKUlvE_clEvENKUlvE0_clEvEUlfE_St5arrayIPcLm2EEEEviT0_T1_.num_agpr, max(0, .L_ZN3c104guts5applyIRZZZN2at6native12_GLOBAL__N_121bessel_j1_kernel_cudaERNS2_18TensorIteratorBaseEENKUlvE_clEvENKUlvE0_clEvEUlfE_RSt5tupleIJfEEEEDaOT_OT0_.num_agpr)
	.set _ZN2at6native29vectorized_elementwise_kernelILi4EZZZNS0_12_GLOBAL__N_121bessel_j1_kernel_cudaERNS_18TensorIteratorBaseEENKUlvE_clEvENKUlvE0_clEvEUlfE_St5arrayIPcLm2EEEEviT0_T1_.numbered_sgpr, max(33, .L_ZN3c104guts5applyIRZZZN2at6native12_GLOBAL__N_121bessel_j1_kernel_cudaERNS2_18TensorIteratorBaseEENKUlvE_clEvENKUlvE0_clEvEUlfE_RSt5tupleIJfEEEEDaOT_OT0_.numbered_sgpr)
	.set _ZN2at6native29vectorized_elementwise_kernelILi4EZZZNS0_12_GLOBAL__N_121bessel_j1_kernel_cudaERNS_18TensorIteratorBaseEENKUlvE_clEvENKUlvE0_clEvEUlfE_St5arrayIPcLm2EEEEviT0_T1_.num_named_barrier, max(0, .L_ZN3c104guts5applyIRZZZN2at6native12_GLOBAL__N_121bessel_j1_kernel_cudaERNS2_18TensorIteratorBaseEENKUlvE_clEvENKUlvE0_clEvEUlfE_RSt5tupleIJfEEEEDaOT_OT0_.num_named_barrier)
	.set _ZN2at6native29vectorized_elementwise_kernelILi4EZZZNS0_12_GLOBAL__N_121bessel_j1_kernel_cudaERNS_18TensorIteratorBaseEENKUlvE_clEvENKUlvE0_clEvEUlfE_St5arrayIPcLm2EEEEviT0_T1_.private_seg_size, 0+max(.L_ZN3c104guts5applyIRZZZN2at6native12_GLOBAL__N_121bessel_j1_kernel_cudaERNS2_18TensorIteratorBaseEENKUlvE_clEvENKUlvE0_clEvEUlfE_RSt5tupleIJfEEEEDaOT_OT0_.private_seg_size)
	.set _ZN2at6native29vectorized_elementwise_kernelILi4EZZZNS0_12_GLOBAL__N_121bessel_j1_kernel_cudaERNS_18TensorIteratorBaseEENKUlvE_clEvENKUlvE0_clEvEUlfE_St5arrayIPcLm2EEEEviT0_T1_.uses_vcc, or(1, .L_ZN3c104guts5applyIRZZZN2at6native12_GLOBAL__N_121bessel_j1_kernel_cudaERNS2_18TensorIteratorBaseEENKUlvE_clEvENKUlvE0_clEvEUlfE_RSt5tupleIJfEEEEDaOT_OT0_.uses_vcc)
	.set _ZN2at6native29vectorized_elementwise_kernelILi4EZZZNS0_12_GLOBAL__N_121bessel_j1_kernel_cudaERNS_18TensorIteratorBaseEENKUlvE_clEvENKUlvE0_clEvEUlfE_St5arrayIPcLm2EEEEviT0_T1_.uses_flat_scratch, or(0, .L_ZN3c104guts5applyIRZZZN2at6native12_GLOBAL__N_121bessel_j1_kernel_cudaERNS2_18TensorIteratorBaseEENKUlvE_clEvENKUlvE0_clEvEUlfE_RSt5tupleIJfEEEEDaOT_OT0_.uses_flat_scratch)
	.set _ZN2at6native29vectorized_elementwise_kernelILi4EZZZNS0_12_GLOBAL__N_121bessel_j1_kernel_cudaERNS_18TensorIteratorBaseEENKUlvE_clEvENKUlvE0_clEvEUlfE_St5arrayIPcLm2EEEEviT0_T1_.has_dyn_sized_stack, or(0, .L_ZN3c104guts5applyIRZZZN2at6native12_GLOBAL__N_121bessel_j1_kernel_cudaERNS2_18TensorIteratorBaseEENKUlvE_clEvENKUlvE0_clEvEUlfE_RSt5tupleIJfEEEEDaOT_OT0_.has_dyn_sized_stack)
	.set _ZN2at6native29vectorized_elementwise_kernelILi4EZZZNS0_12_GLOBAL__N_121bessel_j1_kernel_cudaERNS_18TensorIteratorBaseEENKUlvE_clEvENKUlvE0_clEvEUlfE_St5arrayIPcLm2EEEEviT0_T1_.has_recursion, or(0, .L_ZN3c104guts5applyIRZZZN2at6native12_GLOBAL__N_121bessel_j1_kernel_cudaERNS2_18TensorIteratorBaseEENKUlvE_clEvENKUlvE0_clEvEUlfE_RSt5tupleIJfEEEEDaOT_OT0_.has_recursion)
	.set _ZN2at6native29vectorized_elementwise_kernelILi4EZZZNS0_12_GLOBAL__N_121bessel_j1_kernel_cudaERNS_18TensorIteratorBaseEENKUlvE_clEvENKUlvE0_clEvEUlfE_St5arrayIPcLm2EEEEviT0_T1_.has_indirect_call, or(0, .L_ZN3c104guts5applyIRZZZN2at6native12_GLOBAL__N_121bessel_j1_kernel_cudaERNS2_18TensorIteratorBaseEENKUlvE_clEvENKUlvE0_clEvEUlfE_RSt5tupleIJfEEEEDaOT_OT0_.has_indirect_call)
	.section	.AMDGPU.csdata,"",@progbits
; Kernel info:
; codeLenInByte = 1072
; TotalNumSgprs: 35
; NumVgprs: 42
; ScratchSize: 0
; MemoryBound: 0
; FloatMode: 240
; IeeeMode: 1
; LDSByteSize: 0 bytes/workgroup (compile time only)
; SGPRBlocks: 0
; VGPRBlocks: 5
; NumSGPRsForWavesPerEU: 35
; NumVGPRsForWavesPerEU: 42
; Occupancy: 16
; WaveLimiterHint : 0
; COMPUTE_PGM_RSRC2:SCRATCH_EN: 0
; COMPUTE_PGM_RSRC2:USER_SGPR: 6
; COMPUTE_PGM_RSRC2:TRAP_HANDLER: 0
; COMPUTE_PGM_RSRC2:TGID_X_EN: 1
; COMPUTE_PGM_RSRC2:TGID_Y_EN: 0
; COMPUTE_PGM_RSRC2:TGID_Z_EN: 0
; COMPUTE_PGM_RSRC2:TIDIG_COMP_CNT: 0
	.section	.text._ZN2at6native29vectorized_elementwise_kernelILi2EZZZNS0_12_GLOBAL__N_121bessel_j1_kernel_cudaERNS_18TensorIteratorBaseEENKUlvE_clEvENKUlvE0_clEvEUlfE_St5arrayIPcLm2EEEEviT0_T1_,"axG",@progbits,_ZN2at6native29vectorized_elementwise_kernelILi2EZZZNS0_12_GLOBAL__N_121bessel_j1_kernel_cudaERNS_18TensorIteratorBaseEENKUlvE_clEvENKUlvE0_clEvEUlfE_St5arrayIPcLm2EEEEviT0_T1_,comdat
	.globl	_ZN2at6native29vectorized_elementwise_kernelILi2EZZZNS0_12_GLOBAL__N_121bessel_j1_kernel_cudaERNS_18TensorIteratorBaseEENKUlvE_clEvENKUlvE0_clEvEUlfE_St5arrayIPcLm2EEEEviT0_T1_ ; -- Begin function _ZN2at6native29vectorized_elementwise_kernelILi2EZZZNS0_12_GLOBAL__N_121bessel_j1_kernel_cudaERNS_18TensorIteratorBaseEENKUlvE_clEvENKUlvE0_clEvEUlfE_St5arrayIPcLm2EEEEviT0_T1_
	.p2align	8
	.type	_ZN2at6native29vectorized_elementwise_kernelILi2EZZZNS0_12_GLOBAL__N_121bessel_j1_kernel_cudaERNS_18TensorIteratorBaseEENKUlvE_clEvENKUlvE0_clEvEUlfE_St5arrayIPcLm2EEEEviT0_T1_,@function
_ZN2at6native29vectorized_elementwise_kernelILi2EZZZNS0_12_GLOBAL__N_121bessel_j1_kernel_cudaERNS_18TensorIteratorBaseEENKUlvE_clEvENKUlvE0_clEvEUlfE_St5arrayIPcLm2EEEEviT0_T1_: ; @_ZN2at6native29vectorized_elementwise_kernelILi2EZZZNS0_12_GLOBAL__N_121bessel_j1_kernel_cudaERNS_18TensorIteratorBaseEENKUlvE_clEvENKUlvE0_clEvEUlfE_St5arrayIPcLm2EEEEviT0_T1_
; %bb.0:
	s_add_u32 s0, s0, s7
	s_clause 0x1
	s_load_dword s7, s[4:5], 0x0
	s_load_dwordx4 s[12:15], s[4:5], 0x8
	s_addc_u32 s1, s1, 0
	s_lshl_b32 s16, s6, 10
	v_mov_b32_e32 v31, v0
	s_mov_b32 s10, -1
	s_mov_b32 s32, 0
	s_waitcnt lgkmcnt(0)
	s_sub_i32 s11, s7, s16
	s_cmpk_gt_i32 s11, 0x3ff
	s_cbranch_scc0 .LBB13_2
; %bb.1:
	s_ashr_i32 s17, s16, 31
	v_lshlrev_b32_e32 v36, 3, v31
	s_lshl_b64 s[18:19], s[16:17], 2
	s_mov_b32 s10, 0
	s_add_u32 s4, s14, s18
	s_addc_u32 s5, s15, s19
	v_add_co_u32 v0, s6, s4, v36
	v_add_co_ci_u32_e64 v1, null, s5, 0, s6
	global_load_dwordx2 v[32:33], v36, s[4:5]
	v_add_co_u32 v0, vcc_lo, 0x800, v0
	v_add_co_ci_u32_e64 v1, null, 0, v1, vcc_lo
	s_getpc_b64 s[20:21]
	s_add_u32 s20, s20, _ZN3c104guts5applyIRZZZN2at6native12_GLOBAL__N_121bessel_j1_kernel_cudaERNS2_18TensorIteratorBaseEENKUlvE_clEvENKUlvE0_clEvEUlfE_RSt5tupleIJfEEEEDaOT_OT0_@rel32@lo+4
	s_addc_u32 s21, s21, _ZN3c104guts5applyIRZZZN2at6native12_GLOBAL__N_121bessel_j1_kernel_cudaERNS2_18TensorIteratorBaseEENKUlvE_clEvENKUlvE0_clEvEUlfE_RSt5tupleIJfEEEEDaOT_OT0_@rel32@hi+12
	global_load_dwordx2 v[34:35], v[0:1], off
	s_waitcnt vmcnt(1)
	v_mov_b32_e32 v0, v32
	s_swappc_b64 s[30:31], s[20:21]
	v_mov_b32_e32 v32, v0
	v_mov_b32_e32 v0, v33
	s_swappc_b64 s[30:31], s[20:21]
	v_mov_b32_e32 v33, v0
	;; [unrolled: 3-line block ×3, first 2 shown]
	v_mov_b32_e32 v0, v35
	s_swappc_b64 s[30:31], s[20:21]
	s_add_u32 s4, s12, s18
	v_mov_b32_e32 v35, v0
	s_addc_u32 s5, s13, s19
	v_add_co_u32 v0, s6, s4, v36
	v_add_co_ci_u32_e64 v1, null, s5, 0, s6
	v_add_co_u32 v0, vcc_lo, 0x800, v0
	v_add_co_ci_u32_e64 v1, null, 0, v1, vcc_lo
	global_store_dwordx2 v36, v[32:33], s[4:5]
	global_store_dwordx2 v[0:1], v[34:35], off
.LBB13_2:
	s_andn2_b32 vcc_lo, exec_lo, s10
	s_cbranch_vccnz .LBB13_23
; %bb.3:
	v_cmp_gt_i32_e64 s10, s11, v31
	v_mov_b32_e32 v32, 0
	v_or_b32_e32 v39, s16, v31
	v_or_b32_e32 v41, 0x100, v31
	v_mov_b32_e32 v0, 0
	v_mov_b32_e32 v1, v31
	s_and_saveexec_b32 s4, s10
	s_cbranch_execz .LBB13_5
; %bb.4:
	v_mov_b32_e32 v40, 0
	v_lshlrev_b64 v[0:1], 2, v[39:40]
	v_add_co_u32 v0, vcc_lo, s14, v0
	v_add_co_ci_u32_e64 v1, null, s15, v1, vcc_lo
	global_load_dword v0, v[0:1], off
	v_or_b32_e32 v1, 0x100, v31
.LBB13_5:
	s_or_b32 exec_lo, exec_lo, s4
	s_mov_b32 s4, exec_lo
	v_cmpx_gt_i32_e64 s11, v1
	s_cbranch_execz .LBB13_7
; %bb.6:
	v_add_nc_u32_e32 v2, s16, v1
	v_mov_b32_e32 v3, 0
	v_add_nc_u32_e32 v1, 0x100, v1
	v_lshlrev_b64 v[2:3], 2, v[2:3]
	v_add_co_u32 v2, vcc_lo, s14, v2
	v_add_co_ci_u32_e64 v3, null, s15, v3, vcc_lo
	global_load_dword v32, v[2:3], off
.LBB13_7:
	s_or_b32 exec_lo, exec_lo, s4
	v_mov_b32_e32 v33, 0
	v_mov_b32_e32 v34, 0
	s_mov_b32 s4, exec_lo
	v_cmpx_gt_i32_e64 s11, v1
	s_cbranch_execz .LBB13_9
; %bb.8:
	v_add_nc_u32_e32 v2, s16, v1
	v_mov_b32_e32 v3, 0
	v_add_nc_u32_e32 v1, 0x100, v1
	v_lshlrev_b64 v[2:3], 2, v[2:3]
	v_add_co_u32 v2, vcc_lo, s14, v2
	v_add_co_ci_u32_e64 v3, null, s15, v3, vcc_lo
	global_load_dword v34, v[2:3], off
.LBB13_9:
	s_or_b32 exec_lo, exec_lo, s4
	s_mov_b32 s4, exec_lo
	v_cmpx_gt_i32_e64 s11, v1
	s_cbranch_execz .LBB13_11
; %bb.10:
	v_add_nc_u32_e32 v1, s16, v1
	v_mov_b32_e32 v2, 0
	v_lshlrev_b64 v[1:2], 2, v[1:2]
	v_add_co_u32 v1, vcc_lo, s14, v1
	v_add_co_ci_u32_e64 v2, null, s15, v2, vcc_lo
	global_load_dword v33, v[1:2], off
.LBB13_11:
	s_or_b32 exec_lo, exec_lo, s4
	v_mov_b32_e32 v35, 0
	v_mov_b32_e32 v36, v35
	;; [unrolled: 1-line block ×4, first 2 shown]
	s_and_saveexec_b32 s14, s10
	s_cbranch_execz .LBB13_13
; %bb.12:
	s_getpc_b64 s[4:5]
	s_add_u32 s4, s4, _ZN3c104guts5applyIRZZZN2at6native12_GLOBAL__N_121bessel_j1_kernel_cudaERNS2_18TensorIteratorBaseEENKUlvE_clEvENKUlvE0_clEvEUlfE_RSt5tupleIJfEEEEDaOT_OT0_@rel32@lo+4
	s_addc_u32 s5, s5, _ZN3c104guts5applyIRZZZN2at6native12_GLOBAL__N_121bessel_j1_kernel_cudaERNS2_18TensorIteratorBaseEENKUlvE_clEvENKUlvE0_clEvEUlfE_RSt5tupleIJfEEEEDaOT_OT0_@rel32@hi+12
	s_swappc_b64 s[30:31], s[4:5]
	v_mov_b32_e32 v3, v35
	v_mov_b32_e32 v1, v35
	;; [unrolled: 1-line block ×7, first 2 shown]
.LBB13_13:
	s_or_b32 exec_lo, exec_lo, s14
	s_mov_b32 s14, exec_lo
	v_cmpx_gt_i32_e64 s11, v41
	s_cbranch_execz .LBB13_15
; %bb.14:
	s_waitcnt vmcnt(0)
	v_mov_b32_e32 v0, v32
	s_getpc_b64 s[4:5]
	s_add_u32 s4, s4, _ZN3c104guts5applyIRZZZN2at6native12_GLOBAL__N_121bessel_j1_kernel_cudaERNS2_18TensorIteratorBaseEENKUlvE_clEvENKUlvE0_clEvEUlfE_RSt5tupleIJfEEEEDaOT_OT0_@rel32@lo+4
	s_addc_u32 s5, s5, _ZN3c104guts5applyIRZZZN2at6native12_GLOBAL__N_121bessel_j1_kernel_cudaERNS2_18TensorIteratorBaseEENKUlvE_clEvENKUlvE0_clEvEUlfE_RSt5tupleIJfEEEEDaOT_OT0_@rel32@hi+12
	s_swappc_b64 s[30:31], s[4:5]
	v_mov_b32_e32 v36, v0
.LBB13_15:
	s_or_b32 exec_lo, exec_lo, s14
	s_waitcnt vmcnt(0)
	v_or_b32_e32 v0, 0x200, v31
	s_mov_b32 s14, exec_lo
	v_cmpx_gt_i32_e64 s11, v0
	s_cbranch_execz .LBB13_17
; %bb.16:
	v_mov_b32_e32 v0, v34
	s_getpc_b64 s[4:5]
	s_add_u32 s4, s4, _ZN3c104guts5applyIRZZZN2at6native12_GLOBAL__N_121bessel_j1_kernel_cudaERNS2_18TensorIteratorBaseEENKUlvE_clEvENKUlvE0_clEvEUlfE_RSt5tupleIJfEEEEDaOT_OT0_@rel32@lo+4
	s_addc_u32 s5, s5, _ZN3c104guts5applyIRZZZN2at6native12_GLOBAL__N_121bessel_j1_kernel_cudaERNS2_18TensorIteratorBaseEENKUlvE_clEvENKUlvE0_clEvEUlfE_RSt5tupleIJfEEEEDaOT_OT0_@rel32@hi+12
	s_swappc_b64 s[30:31], s[4:5]
	v_mov_b32_e32 v37, v0
.LBB13_17:
	s_or_b32 exec_lo, exec_lo, s14
	v_or_b32_e32 v0, 0x300, v31
	s_mov_b32 s14, exec_lo
	v_cmpx_gt_i32_e64 s11, v0
	s_cbranch_execnz .LBB13_24
; %bb.18:
	s_or_b32 exec_lo, exec_lo, s14
	s_and_saveexec_b32 s4, s10
	s_xor_b32 s4, exec_lo, s4
	s_cbranch_execnz .LBB13_25
.LBB13_19:
	s_or_b32 exec_lo, exec_lo, s4
	s_mov_b32 s4, exec_lo
	v_cmpx_gt_i32_e64 s11, v31
	s_cbranch_execnz .LBB13_26
.LBB13_20:
	s_or_b32 exec_lo, exec_lo, s4
	s_mov_b32 s4, exec_lo
	v_cmpx_gt_i32_e64 s11, v31
	s_cbranch_execnz .LBB13_27
.LBB13_21:
	s_or_b32 exec_lo, exec_lo, s4
	s_mov_b32 s4, exec_lo
	v_cmpx_gt_i32_e64 s11, v31
	s_cbranch_execz .LBB13_23
.LBB13_22:
	v_add_nc_u32_e32 v0, s16, v31
	v_mov_b32_e32 v1, 0
	v_lshlrev_b64 v[0:1], 2, v[0:1]
	v_add_co_u32 v0, vcc_lo, s12, v0
	v_add_co_ci_u32_e64 v1, null, s13, v1, vcc_lo
	global_store_dword v[0:1], v38, off
.LBB13_23:
	s_endpgm
.LBB13_24:
	v_mov_b32_e32 v0, v33
	s_getpc_b64 s[4:5]
	s_add_u32 s4, s4, _ZN3c104guts5applyIRZZZN2at6native12_GLOBAL__N_121bessel_j1_kernel_cudaERNS2_18TensorIteratorBaseEENKUlvE_clEvENKUlvE0_clEvEUlfE_RSt5tupleIJfEEEEDaOT_OT0_@rel32@lo+4
	s_addc_u32 s5, s5, _ZN3c104guts5applyIRZZZN2at6native12_GLOBAL__N_121bessel_j1_kernel_cudaERNS2_18TensorIteratorBaseEENKUlvE_clEvENKUlvE0_clEvEUlfE_RSt5tupleIJfEEEEDaOT_OT0_@rel32@hi+12
	s_swappc_b64 s[30:31], s[4:5]
	v_mov_b32_e32 v38, v0
	s_or_b32 exec_lo, exec_lo, s14
	s_and_saveexec_b32 s4, s10
	s_xor_b32 s4, exec_lo, s4
	s_cbranch_execz .LBB13_19
.LBB13_25:
	v_mov_b32_e32 v40, 0
	v_mov_b32_e32 v31, v41
	v_lshlrev_b64 v[0:1], 2, v[39:40]
	v_add_co_u32 v0, vcc_lo, s12, v0
	v_add_co_ci_u32_e64 v1, null, s13, v1, vcc_lo
	global_store_dword v[0:1], v35, off
	s_or_b32 exec_lo, exec_lo, s4
	s_mov_b32 s4, exec_lo
	v_cmpx_gt_i32_e64 s11, v31
	s_cbranch_execz .LBB13_20
.LBB13_26:
	v_add_nc_u32_e32 v0, s16, v31
	v_mov_b32_e32 v1, 0
	v_add_nc_u32_e32 v31, 0x100, v31
	v_lshlrev_b64 v[0:1], 2, v[0:1]
	v_add_co_u32 v0, vcc_lo, s12, v0
	v_add_co_ci_u32_e64 v1, null, s13, v1, vcc_lo
	global_store_dword v[0:1], v36, off
	s_or_b32 exec_lo, exec_lo, s4
	s_mov_b32 s4, exec_lo
	v_cmpx_gt_i32_e64 s11, v31
	s_cbranch_execz .LBB13_21
.LBB13_27:
	v_add_nc_u32_e32 v0, s16, v31
	v_mov_b32_e32 v1, 0
	v_add_nc_u32_e32 v31, 0x100, v31
	v_lshlrev_b64 v[0:1], 2, v[0:1]
	v_add_co_u32 v0, vcc_lo, s12, v0
	v_add_co_ci_u32_e64 v1, null, s13, v1, vcc_lo
	global_store_dword v[0:1], v37, off
	s_or_b32 exec_lo, exec_lo, s4
	s_mov_b32 s4, exec_lo
	v_cmpx_gt_i32_e64 s11, v31
	s_cbranch_execnz .LBB13_22
	s_branch .LBB13_23
	.section	.rodata,"a",@progbits
	.p2align	6, 0x0
	.amdhsa_kernel _ZN2at6native29vectorized_elementwise_kernelILi2EZZZNS0_12_GLOBAL__N_121bessel_j1_kernel_cudaERNS_18TensorIteratorBaseEENKUlvE_clEvENKUlvE0_clEvEUlfE_St5arrayIPcLm2EEEEviT0_T1_
		.amdhsa_group_segment_fixed_size 0
		.amdhsa_private_segment_fixed_size 0
		.amdhsa_kernarg_size 24
		.amdhsa_user_sgpr_count 6
		.amdhsa_user_sgpr_private_segment_buffer 1
		.amdhsa_user_sgpr_dispatch_ptr 0
		.amdhsa_user_sgpr_queue_ptr 0
		.amdhsa_user_sgpr_kernarg_segment_ptr 1
		.amdhsa_user_sgpr_dispatch_id 0
		.amdhsa_user_sgpr_flat_scratch_init 0
		.amdhsa_user_sgpr_private_segment_size 0
		.amdhsa_wavefront_size32 1
		.amdhsa_uses_dynamic_stack 0
		.amdhsa_system_sgpr_private_segment_wavefront_offset 0
		.amdhsa_system_sgpr_workgroup_id_x 1
		.amdhsa_system_sgpr_workgroup_id_y 0
		.amdhsa_system_sgpr_workgroup_id_z 0
		.amdhsa_system_sgpr_workgroup_info 0
		.amdhsa_system_vgpr_workitem_id 0
		.amdhsa_next_free_vgpr 42
		.amdhsa_next_free_sgpr 33
		.amdhsa_reserve_vcc 1
		.amdhsa_reserve_flat_scratch 0
		.amdhsa_float_round_mode_32 0
		.amdhsa_float_round_mode_16_64 0
		.amdhsa_float_denorm_mode_32 3
		.amdhsa_float_denorm_mode_16_64 3
		.amdhsa_dx10_clamp 1
		.amdhsa_ieee_mode 1
		.amdhsa_fp16_overflow 0
		.amdhsa_workgroup_processor_mode 1
		.amdhsa_memory_ordered 1
		.amdhsa_forward_progress 1
		.amdhsa_shared_vgpr_count 0
		.amdhsa_exception_fp_ieee_invalid_op 0
		.amdhsa_exception_fp_denorm_src 0
		.amdhsa_exception_fp_ieee_div_zero 0
		.amdhsa_exception_fp_ieee_overflow 0
		.amdhsa_exception_fp_ieee_underflow 0
		.amdhsa_exception_fp_ieee_inexact 0
		.amdhsa_exception_int_div_zero 0
	.end_amdhsa_kernel
	.section	.text._ZN2at6native29vectorized_elementwise_kernelILi2EZZZNS0_12_GLOBAL__N_121bessel_j1_kernel_cudaERNS_18TensorIteratorBaseEENKUlvE_clEvENKUlvE0_clEvEUlfE_St5arrayIPcLm2EEEEviT0_T1_,"axG",@progbits,_ZN2at6native29vectorized_elementwise_kernelILi2EZZZNS0_12_GLOBAL__N_121bessel_j1_kernel_cudaERNS_18TensorIteratorBaseEENKUlvE_clEvENKUlvE0_clEvEUlfE_St5arrayIPcLm2EEEEviT0_T1_,comdat
.Lfunc_end13:
	.size	_ZN2at6native29vectorized_elementwise_kernelILi2EZZZNS0_12_GLOBAL__N_121bessel_j1_kernel_cudaERNS_18TensorIteratorBaseEENKUlvE_clEvENKUlvE0_clEvEUlfE_St5arrayIPcLm2EEEEviT0_T1_, .Lfunc_end13-_ZN2at6native29vectorized_elementwise_kernelILi2EZZZNS0_12_GLOBAL__N_121bessel_j1_kernel_cudaERNS_18TensorIteratorBaseEENKUlvE_clEvENKUlvE0_clEvEUlfE_St5arrayIPcLm2EEEEviT0_T1_
                                        ; -- End function
	.set _ZN2at6native29vectorized_elementwise_kernelILi2EZZZNS0_12_GLOBAL__N_121bessel_j1_kernel_cudaERNS_18TensorIteratorBaseEENKUlvE_clEvENKUlvE0_clEvEUlfE_St5arrayIPcLm2EEEEviT0_T1_.num_vgpr, max(42, .L_ZN3c104guts5applyIRZZZN2at6native12_GLOBAL__N_121bessel_j1_kernel_cudaERNS2_18TensorIteratorBaseEENKUlvE_clEvENKUlvE0_clEvEUlfE_RSt5tupleIJfEEEEDaOT_OT0_.num_vgpr)
	.set _ZN2at6native29vectorized_elementwise_kernelILi2EZZZNS0_12_GLOBAL__N_121bessel_j1_kernel_cudaERNS_18TensorIteratorBaseEENKUlvE_clEvENKUlvE0_clEvEUlfE_St5arrayIPcLm2EEEEviT0_T1_.num_agpr, max(0, .L_ZN3c104guts5applyIRZZZN2at6native12_GLOBAL__N_121bessel_j1_kernel_cudaERNS2_18TensorIteratorBaseEENKUlvE_clEvENKUlvE0_clEvEUlfE_RSt5tupleIJfEEEEDaOT_OT0_.num_agpr)
	.set _ZN2at6native29vectorized_elementwise_kernelILi2EZZZNS0_12_GLOBAL__N_121bessel_j1_kernel_cudaERNS_18TensorIteratorBaseEENKUlvE_clEvENKUlvE0_clEvEUlfE_St5arrayIPcLm2EEEEviT0_T1_.numbered_sgpr, max(33, .L_ZN3c104guts5applyIRZZZN2at6native12_GLOBAL__N_121bessel_j1_kernel_cudaERNS2_18TensorIteratorBaseEENKUlvE_clEvENKUlvE0_clEvEUlfE_RSt5tupleIJfEEEEDaOT_OT0_.numbered_sgpr)
	.set _ZN2at6native29vectorized_elementwise_kernelILi2EZZZNS0_12_GLOBAL__N_121bessel_j1_kernel_cudaERNS_18TensorIteratorBaseEENKUlvE_clEvENKUlvE0_clEvEUlfE_St5arrayIPcLm2EEEEviT0_T1_.num_named_barrier, max(0, .L_ZN3c104guts5applyIRZZZN2at6native12_GLOBAL__N_121bessel_j1_kernel_cudaERNS2_18TensorIteratorBaseEENKUlvE_clEvENKUlvE0_clEvEUlfE_RSt5tupleIJfEEEEDaOT_OT0_.num_named_barrier)
	.set _ZN2at6native29vectorized_elementwise_kernelILi2EZZZNS0_12_GLOBAL__N_121bessel_j1_kernel_cudaERNS_18TensorIteratorBaseEENKUlvE_clEvENKUlvE0_clEvEUlfE_St5arrayIPcLm2EEEEviT0_T1_.private_seg_size, 0+max(.L_ZN3c104guts5applyIRZZZN2at6native12_GLOBAL__N_121bessel_j1_kernel_cudaERNS2_18TensorIteratorBaseEENKUlvE_clEvENKUlvE0_clEvEUlfE_RSt5tupleIJfEEEEDaOT_OT0_.private_seg_size)
	.set _ZN2at6native29vectorized_elementwise_kernelILi2EZZZNS0_12_GLOBAL__N_121bessel_j1_kernel_cudaERNS_18TensorIteratorBaseEENKUlvE_clEvENKUlvE0_clEvEUlfE_St5arrayIPcLm2EEEEviT0_T1_.uses_vcc, or(1, .L_ZN3c104guts5applyIRZZZN2at6native12_GLOBAL__N_121bessel_j1_kernel_cudaERNS2_18TensorIteratorBaseEENKUlvE_clEvENKUlvE0_clEvEUlfE_RSt5tupleIJfEEEEDaOT_OT0_.uses_vcc)
	.set _ZN2at6native29vectorized_elementwise_kernelILi2EZZZNS0_12_GLOBAL__N_121bessel_j1_kernel_cudaERNS_18TensorIteratorBaseEENKUlvE_clEvENKUlvE0_clEvEUlfE_St5arrayIPcLm2EEEEviT0_T1_.uses_flat_scratch, or(0, .L_ZN3c104guts5applyIRZZZN2at6native12_GLOBAL__N_121bessel_j1_kernel_cudaERNS2_18TensorIteratorBaseEENKUlvE_clEvENKUlvE0_clEvEUlfE_RSt5tupleIJfEEEEDaOT_OT0_.uses_flat_scratch)
	.set _ZN2at6native29vectorized_elementwise_kernelILi2EZZZNS0_12_GLOBAL__N_121bessel_j1_kernel_cudaERNS_18TensorIteratorBaseEENKUlvE_clEvENKUlvE0_clEvEUlfE_St5arrayIPcLm2EEEEviT0_T1_.has_dyn_sized_stack, or(0, .L_ZN3c104guts5applyIRZZZN2at6native12_GLOBAL__N_121bessel_j1_kernel_cudaERNS2_18TensorIteratorBaseEENKUlvE_clEvENKUlvE0_clEvEUlfE_RSt5tupleIJfEEEEDaOT_OT0_.has_dyn_sized_stack)
	.set _ZN2at6native29vectorized_elementwise_kernelILi2EZZZNS0_12_GLOBAL__N_121bessel_j1_kernel_cudaERNS_18TensorIteratorBaseEENKUlvE_clEvENKUlvE0_clEvEUlfE_St5arrayIPcLm2EEEEviT0_T1_.has_recursion, or(0, .L_ZN3c104guts5applyIRZZZN2at6native12_GLOBAL__N_121bessel_j1_kernel_cudaERNS2_18TensorIteratorBaseEENKUlvE_clEvENKUlvE0_clEvEUlfE_RSt5tupleIJfEEEEDaOT_OT0_.has_recursion)
	.set _ZN2at6native29vectorized_elementwise_kernelILi2EZZZNS0_12_GLOBAL__N_121bessel_j1_kernel_cudaERNS_18TensorIteratorBaseEENKUlvE_clEvENKUlvE0_clEvEUlfE_St5arrayIPcLm2EEEEviT0_T1_.has_indirect_call, or(0, .L_ZN3c104guts5applyIRZZZN2at6native12_GLOBAL__N_121bessel_j1_kernel_cudaERNS2_18TensorIteratorBaseEENKUlvE_clEvENKUlvE0_clEvEUlfE_RSt5tupleIJfEEEEDaOT_OT0_.has_indirect_call)
	.section	.AMDGPU.csdata,"",@progbits
; Kernel info:
; codeLenInByte = 1160
; TotalNumSgprs: 35
; NumVgprs: 42
; ScratchSize: 0
; MemoryBound: 0
; FloatMode: 240
; IeeeMode: 1
; LDSByteSize: 0 bytes/workgroup (compile time only)
; SGPRBlocks: 0
; VGPRBlocks: 5
; NumSGPRsForWavesPerEU: 35
; NumVGPRsForWavesPerEU: 42
; Occupancy: 16
; WaveLimiterHint : 1
; COMPUTE_PGM_RSRC2:SCRATCH_EN: 0
; COMPUTE_PGM_RSRC2:USER_SGPR: 6
; COMPUTE_PGM_RSRC2:TRAP_HANDLER: 0
; COMPUTE_PGM_RSRC2:TGID_X_EN: 1
; COMPUTE_PGM_RSRC2:TGID_Y_EN: 0
; COMPUTE_PGM_RSRC2:TGID_Z_EN: 0
; COMPUTE_PGM_RSRC2:TIDIG_COMP_CNT: 0
	.section	.text._ZN2at6native27unrolled_elementwise_kernelIZZZNS0_12_GLOBAL__N_121bessel_j1_kernel_cudaERNS_18TensorIteratorBaseEENKUlvE_clEvENKUlvE0_clEvEUlfE_St5arrayIPcLm2EELi4E23TrivialOffsetCalculatorILi1EjESC_NS0_6memory15LoadWithoutCastENSD_16StoreWithoutCastEEEviT_T0_T2_T3_T4_T5_,"axG",@progbits,_ZN2at6native27unrolled_elementwise_kernelIZZZNS0_12_GLOBAL__N_121bessel_j1_kernel_cudaERNS_18TensorIteratorBaseEENKUlvE_clEvENKUlvE0_clEvEUlfE_St5arrayIPcLm2EELi4E23TrivialOffsetCalculatorILi1EjESC_NS0_6memory15LoadWithoutCastENSD_16StoreWithoutCastEEEviT_T0_T2_T3_T4_T5_,comdat
	.globl	_ZN2at6native27unrolled_elementwise_kernelIZZZNS0_12_GLOBAL__N_121bessel_j1_kernel_cudaERNS_18TensorIteratorBaseEENKUlvE_clEvENKUlvE0_clEvEUlfE_St5arrayIPcLm2EELi4E23TrivialOffsetCalculatorILi1EjESC_NS0_6memory15LoadWithoutCastENSD_16StoreWithoutCastEEEviT_T0_T2_T3_T4_T5_ ; -- Begin function _ZN2at6native27unrolled_elementwise_kernelIZZZNS0_12_GLOBAL__N_121bessel_j1_kernel_cudaERNS_18TensorIteratorBaseEENKUlvE_clEvENKUlvE0_clEvEUlfE_St5arrayIPcLm2EELi4E23TrivialOffsetCalculatorILi1EjESC_NS0_6memory15LoadWithoutCastENSD_16StoreWithoutCastEEEviT_T0_T2_T3_T4_T5_
	.p2align	8
	.type	_ZN2at6native27unrolled_elementwise_kernelIZZZNS0_12_GLOBAL__N_121bessel_j1_kernel_cudaERNS_18TensorIteratorBaseEENKUlvE_clEvENKUlvE0_clEvEUlfE_St5arrayIPcLm2EELi4E23TrivialOffsetCalculatorILi1EjESC_NS0_6memory15LoadWithoutCastENSD_16StoreWithoutCastEEEviT_T0_T2_T3_T4_T5_,@function
_ZN2at6native27unrolled_elementwise_kernelIZZZNS0_12_GLOBAL__N_121bessel_j1_kernel_cudaERNS_18TensorIteratorBaseEENKUlvE_clEvENKUlvE0_clEvEUlfE_St5arrayIPcLm2EELi4E23TrivialOffsetCalculatorILi1EjESC_NS0_6memory15LoadWithoutCastENSD_16StoreWithoutCastEEEviT_T0_T2_T3_T4_T5_: ; @_ZN2at6native27unrolled_elementwise_kernelIZZZNS0_12_GLOBAL__N_121bessel_j1_kernel_cudaERNS_18TensorIteratorBaseEENKUlvE_clEvENKUlvE0_clEvEUlfE_St5arrayIPcLm2EELi4E23TrivialOffsetCalculatorILi1EjESC_NS0_6memory15LoadWithoutCastENSD_16StoreWithoutCastEEEviT_T0_T2_T3_T4_T5_
; %bb.0:
	s_add_u32 s0, s0, s7
	s_clause 0x1
	s_load_dword s7, s[4:5], 0x0
	s_load_dwordx4 s[12:15], s[4:5], 0x8
	v_mov_b32_e32 v31, v0
	s_addc_u32 s1, s1, 0
	s_lshl_b32 s11, s6, 10
	v_mov_b32_e32 v32, 0
	v_mov_b32_e32 v0, 0
	v_or_b32_e32 v39, s11, v31
	v_or_b32_e32 v41, 0x100, v31
	v_mov_b32_e32 v1, v31
	s_mov_b32 s32, 0
	s_waitcnt lgkmcnt(0)
	s_sub_i32 s16, s7, s11
	v_cmp_gt_i32_e64 s10, s16, v31
	s_and_saveexec_b32 s4, s10
	s_cbranch_execz .LBB14_2
; %bb.1:
	v_mov_b32_e32 v40, 0
	v_lshlrev_b64 v[0:1], 2, v[39:40]
	v_add_co_u32 v0, vcc_lo, s14, v0
	v_add_co_ci_u32_e64 v1, null, s15, v1, vcc_lo
	global_load_dword v0, v[0:1], off
	v_or_b32_e32 v1, 0x100, v31
.LBB14_2:
	s_or_b32 exec_lo, exec_lo, s4
	s_mov_b32 s4, exec_lo
	v_cmpx_gt_i32_e64 s16, v1
	s_cbranch_execz .LBB14_4
; %bb.3:
	v_add_nc_u32_e32 v2, s11, v1
	v_mov_b32_e32 v3, 0
	v_add_nc_u32_e32 v1, 0x100, v1
	v_lshlrev_b64 v[2:3], 2, v[2:3]
	v_add_co_u32 v2, vcc_lo, s14, v2
	v_add_co_ci_u32_e64 v3, null, s15, v3, vcc_lo
	global_load_dword v32, v[2:3], off
.LBB14_4:
	s_or_b32 exec_lo, exec_lo, s4
	v_mov_b32_e32 v33, 0
	v_mov_b32_e32 v34, 0
	s_mov_b32 s4, exec_lo
	v_cmpx_gt_i32_e64 s16, v1
	s_cbranch_execz .LBB14_6
; %bb.5:
	v_add_nc_u32_e32 v2, s11, v1
	v_mov_b32_e32 v3, 0
	v_add_nc_u32_e32 v1, 0x100, v1
	v_lshlrev_b64 v[2:3], 2, v[2:3]
	v_add_co_u32 v2, vcc_lo, s14, v2
	v_add_co_ci_u32_e64 v3, null, s15, v3, vcc_lo
	global_load_dword v34, v[2:3], off
.LBB14_6:
	s_or_b32 exec_lo, exec_lo, s4
	s_mov_b32 s4, exec_lo
	v_cmpx_gt_i32_e64 s16, v1
	s_cbranch_execz .LBB14_8
; %bb.7:
	v_add_nc_u32_e32 v1, s11, v1
	v_mov_b32_e32 v2, 0
	v_lshlrev_b64 v[1:2], 2, v[1:2]
	v_add_co_u32 v1, vcc_lo, s14, v1
	v_add_co_ci_u32_e64 v2, null, s15, v2, vcc_lo
	global_load_dword v33, v[1:2], off
.LBB14_8:
	s_or_b32 exec_lo, exec_lo, s4
	v_mov_b32_e32 v35, 0
	v_mov_b32_e32 v36, v35
	;; [unrolled: 1-line block ×4, first 2 shown]
	s_and_saveexec_b32 s14, s10
	s_cbranch_execz .LBB14_10
; %bb.9:
	s_getpc_b64 s[4:5]
	s_add_u32 s4, s4, _ZN3c104guts5applyIRZZZN2at6native12_GLOBAL__N_121bessel_j1_kernel_cudaERNS2_18TensorIteratorBaseEENKUlvE_clEvENKUlvE0_clEvEUlfE_RSt5tupleIJfEEEEDaOT_OT0_@rel32@lo+4
	s_addc_u32 s5, s5, _ZN3c104guts5applyIRZZZN2at6native12_GLOBAL__N_121bessel_j1_kernel_cudaERNS2_18TensorIteratorBaseEENKUlvE_clEvENKUlvE0_clEvEUlfE_RSt5tupleIJfEEEEDaOT_OT0_@rel32@hi+12
	s_swappc_b64 s[30:31], s[4:5]
	v_mov_b32_e32 v3, v35
	v_mov_b32_e32 v1, v35
	v_mov_b32_e32 v2, v35
	v_mov_b32_e32 v38, v3
	v_mov_b32_e32 v36, v1
	v_mov_b32_e32 v37, v2
	v_mov_b32_e32 v35, v0
.LBB14_10:
	s_or_b32 exec_lo, exec_lo, s14
	s_mov_b32 s14, exec_lo
	v_cmpx_gt_i32_e64 s16, v41
	s_cbranch_execz .LBB14_12
; %bb.11:
	s_waitcnt vmcnt(0)
	v_mov_b32_e32 v0, v32
	s_getpc_b64 s[4:5]
	s_add_u32 s4, s4, _ZN3c104guts5applyIRZZZN2at6native12_GLOBAL__N_121bessel_j1_kernel_cudaERNS2_18TensorIteratorBaseEENKUlvE_clEvENKUlvE0_clEvEUlfE_RSt5tupleIJfEEEEDaOT_OT0_@rel32@lo+4
	s_addc_u32 s5, s5, _ZN3c104guts5applyIRZZZN2at6native12_GLOBAL__N_121bessel_j1_kernel_cudaERNS2_18TensorIteratorBaseEENKUlvE_clEvENKUlvE0_clEvEUlfE_RSt5tupleIJfEEEEDaOT_OT0_@rel32@hi+12
	s_swappc_b64 s[30:31], s[4:5]
	v_mov_b32_e32 v36, v0
.LBB14_12:
	s_or_b32 exec_lo, exec_lo, s14
	s_waitcnt vmcnt(0)
	v_or_b32_e32 v0, 0x200, v31
	s_mov_b32 s14, exec_lo
	v_cmpx_gt_i32_e64 s16, v0
	s_cbranch_execz .LBB14_14
; %bb.13:
	v_mov_b32_e32 v0, v34
	s_getpc_b64 s[4:5]
	s_add_u32 s4, s4, _ZN3c104guts5applyIRZZZN2at6native12_GLOBAL__N_121bessel_j1_kernel_cudaERNS2_18TensorIteratorBaseEENKUlvE_clEvENKUlvE0_clEvEUlfE_RSt5tupleIJfEEEEDaOT_OT0_@rel32@lo+4
	s_addc_u32 s5, s5, _ZN3c104guts5applyIRZZZN2at6native12_GLOBAL__N_121bessel_j1_kernel_cudaERNS2_18TensorIteratorBaseEENKUlvE_clEvENKUlvE0_clEvEUlfE_RSt5tupleIJfEEEEDaOT_OT0_@rel32@hi+12
	s_swappc_b64 s[30:31], s[4:5]
	v_mov_b32_e32 v37, v0
.LBB14_14:
	s_or_b32 exec_lo, exec_lo, s14
	v_or_b32_e32 v0, 0x300, v31
	s_mov_b32 s14, exec_lo
	v_cmpx_gt_i32_e64 s16, v0
	s_cbranch_execnz .LBB14_20
; %bb.15:
	s_or_b32 exec_lo, exec_lo, s14
	s_and_saveexec_b32 s4, s10
	s_xor_b32 s4, exec_lo, s4
	s_cbranch_execnz .LBB14_21
.LBB14_16:
	s_or_b32 exec_lo, exec_lo, s4
	s_mov_b32 s4, exec_lo
	v_cmpx_gt_i32_e64 s16, v31
	s_cbranch_execnz .LBB14_22
.LBB14_17:
	s_or_b32 exec_lo, exec_lo, s4
	s_mov_b32 s4, exec_lo
	v_cmpx_gt_i32_e64 s16, v31
	s_cbranch_execnz .LBB14_23
.LBB14_18:
	s_or_b32 exec_lo, exec_lo, s4
	s_mov_b32 s4, exec_lo
	v_cmpx_gt_i32_e64 s16, v31
	s_cbranch_execnz .LBB14_24
.LBB14_19:
	s_endpgm
.LBB14_20:
	v_mov_b32_e32 v0, v33
	s_getpc_b64 s[4:5]
	s_add_u32 s4, s4, _ZN3c104guts5applyIRZZZN2at6native12_GLOBAL__N_121bessel_j1_kernel_cudaERNS2_18TensorIteratorBaseEENKUlvE_clEvENKUlvE0_clEvEUlfE_RSt5tupleIJfEEEEDaOT_OT0_@rel32@lo+4
	s_addc_u32 s5, s5, _ZN3c104guts5applyIRZZZN2at6native12_GLOBAL__N_121bessel_j1_kernel_cudaERNS2_18TensorIteratorBaseEENKUlvE_clEvENKUlvE0_clEvEUlfE_RSt5tupleIJfEEEEDaOT_OT0_@rel32@hi+12
	s_swappc_b64 s[30:31], s[4:5]
	v_mov_b32_e32 v38, v0
	s_or_b32 exec_lo, exec_lo, s14
	s_and_saveexec_b32 s4, s10
	s_xor_b32 s4, exec_lo, s4
	s_cbranch_execz .LBB14_16
.LBB14_21:
	v_mov_b32_e32 v40, 0
	v_mov_b32_e32 v31, v41
	v_lshlrev_b64 v[0:1], 2, v[39:40]
	v_add_co_u32 v0, vcc_lo, s12, v0
	v_add_co_ci_u32_e64 v1, null, s13, v1, vcc_lo
	global_store_dword v[0:1], v35, off
	s_or_b32 exec_lo, exec_lo, s4
	s_mov_b32 s4, exec_lo
	v_cmpx_gt_i32_e64 s16, v31
	s_cbranch_execz .LBB14_17
.LBB14_22:
	v_add_nc_u32_e32 v0, s11, v31
	v_mov_b32_e32 v1, 0
	v_add_nc_u32_e32 v31, 0x100, v31
	v_lshlrev_b64 v[0:1], 2, v[0:1]
	v_add_co_u32 v0, vcc_lo, s12, v0
	v_add_co_ci_u32_e64 v1, null, s13, v1, vcc_lo
	global_store_dword v[0:1], v36, off
	s_or_b32 exec_lo, exec_lo, s4
	s_mov_b32 s4, exec_lo
	v_cmpx_gt_i32_e64 s16, v31
	s_cbranch_execz .LBB14_18
.LBB14_23:
	v_add_nc_u32_e32 v0, s11, v31
	v_mov_b32_e32 v1, 0
	v_add_nc_u32_e32 v31, 0x100, v31
	v_lshlrev_b64 v[0:1], 2, v[0:1]
	v_add_co_u32 v0, vcc_lo, s12, v0
	v_add_co_ci_u32_e64 v1, null, s13, v1, vcc_lo
	global_store_dword v[0:1], v37, off
	s_or_b32 exec_lo, exec_lo, s4
	s_mov_b32 s4, exec_lo
	v_cmpx_gt_i32_e64 s16, v31
	s_cbranch_execz .LBB14_19
.LBB14_24:
	v_add_nc_u32_e32 v0, s11, v31
	v_mov_b32_e32 v1, 0
	v_lshlrev_b64 v[0:1], 2, v[0:1]
	v_add_co_u32 v0, vcc_lo, s12, v0
	v_add_co_ci_u32_e64 v1, null, s13, v1, vcc_lo
	global_store_dword v[0:1], v38, off
	s_endpgm
	.section	.rodata,"a",@progbits
	.p2align	6, 0x0
	.amdhsa_kernel _ZN2at6native27unrolled_elementwise_kernelIZZZNS0_12_GLOBAL__N_121bessel_j1_kernel_cudaERNS_18TensorIteratorBaseEENKUlvE_clEvENKUlvE0_clEvEUlfE_St5arrayIPcLm2EELi4E23TrivialOffsetCalculatorILi1EjESC_NS0_6memory15LoadWithoutCastENSD_16StoreWithoutCastEEEviT_T0_T2_T3_T4_T5_
		.amdhsa_group_segment_fixed_size 0
		.amdhsa_private_segment_fixed_size 0
		.amdhsa_kernarg_size 28
		.amdhsa_user_sgpr_count 6
		.amdhsa_user_sgpr_private_segment_buffer 1
		.amdhsa_user_sgpr_dispatch_ptr 0
		.amdhsa_user_sgpr_queue_ptr 0
		.amdhsa_user_sgpr_kernarg_segment_ptr 1
		.amdhsa_user_sgpr_dispatch_id 0
		.amdhsa_user_sgpr_flat_scratch_init 0
		.amdhsa_user_sgpr_private_segment_size 0
		.amdhsa_wavefront_size32 1
		.amdhsa_uses_dynamic_stack 0
		.amdhsa_system_sgpr_private_segment_wavefront_offset 0
		.amdhsa_system_sgpr_workgroup_id_x 1
		.amdhsa_system_sgpr_workgroup_id_y 0
		.amdhsa_system_sgpr_workgroup_id_z 0
		.amdhsa_system_sgpr_workgroup_info 0
		.amdhsa_system_vgpr_workitem_id 0
		.amdhsa_next_free_vgpr 42
		.amdhsa_next_free_sgpr 33
		.amdhsa_reserve_vcc 1
		.amdhsa_reserve_flat_scratch 0
		.amdhsa_float_round_mode_32 0
		.amdhsa_float_round_mode_16_64 0
		.amdhsa_float_denorm_mode_32 3
		.amdhsa_float_denorm_mode_16_64 3
		.amdhsa_dx10_clamp 1
		.amdhsa_ieee_mode 1
		.amdhsa_fp16_overflow 0
		.amdhsa_workgroup_processor_mode 1
		.amdhsa_memory_ordered 1
		.amdhsa_forward_progress 1
		.amdhsa_shared_vgpr_count 0
		.amdhsa_exception_fp_ieee_invalid_op 0
		.amdhsa_exception_fp_denorm_src 0
		.amdhsa_exception_fp_ieee_div_zero 0
		.amdhsa_exception_fp_ieee_overflow 0
		.amdhsa_exception_fp_ieee_underflow 0
		.amdhsa_exception_fp_ieee_inexact 0
		.amdhsa_exception_int_div_zero 0
	.end_amdhsa_kernel
	.section	.text._ZN2at6native27unrolled_elementwise_kernelIZZZNS0_12_GLOBAL__N_121bessel_j1_kernel_cudaERNS_18TensorIteratorBaseEENKUlvE_clEvENKUlvE0_clEvEUlfE_St5arrayIPcLm2EELi4E23TrivialOffsetCalculatorILi1EjESC_NS0_6memory15LoadWithoutCastENSD_16StoreWithoutCastEEEviT_T0_T2_T3_T4_T5_,"axG",@progbits,_ZN2at6native27unrolled_elementwise_kernelIZZZNS0_12_GLOBAL__N_121bessel_j1_kernel_cudaERNS_18TensorIteratorBaseEENKUlvE_clEvENKUlvE0_clEvEUlfE_St5arrayIPcLm2EELi4E23TrivialOffsetCalculatorILi1EjESC_NS0_6memory15LoadWithoutCastENSD_16StoreWithoutCastEEEviT_T0_T2_T3_T4_T5_,comdat
.Lfunc_end14:
	.size	_ZN2at6native27unrolled_elementwise_kernelIZZZNS0_12_GLOBAL__N_121bessel_j1_kernel_cudaERNS_18TensorIteratorBaseEENKUlvE_clEvENKUlvE0_clEvEUlfE_St5arrayIPcLm2EELi4E23TrivialOffsetCalculatorILi1EjESC_NS0_6memory15LoadWithoutCastENSD_16StoreWithoutCastEEEviT_T0_T2_T3_T4_T5_, .Lfunc_end14-_ZN2at6native27unrolled_elementwise_kernelIZZZNS0_12_GLOBAL__N_121bessel_j1_kernel_cudaERNS_18TensorIteratorBaseEENKUlvE_clEvENKUlvE0_clEvEUlfE_St5arrayIPcLm2EELi4E23TrivialOffsetCalculatorILi1EjESC_NS0_6memory15LoadWithoutCastENSD_16StoreWithoutCastEEEviT_T0_T2_T3_T4_T5_
                                        ; -- End function
	.set _ZN2at6native27unrolled_elementwise_kernelIZZZNS0_12_GLOBAL__N_121bessel_j1_kernel_cudaERNS_18TensorIteratorBaseEENKUlvE_clEvENKUlvE0_clEvEUlfE_St5arrayIPcLm2EELi4E23TrivialOffsetCalculatorILi1EjESC_NS0_6memory15LoadWithoutCastENSD_16StoreWithoutCastEEEviT_T0_T2_T3_T4_T5_.num_vgpr, max(42, .L_ZN3c104guts5applyIRZZZN2at6native12_GLOBAL__N_121bessel_j1_kernel_cudaERNS2_18TensorIteratorBaseEENKUlvE_clEvENKUlvE0_clEvEUlfE_RSt5tupleIJfEEEEDaOT_OT0_.num_vgpr)
	.set _ZN2at6native27unrolled_elementwise_kernelIZZZNS0_12_GLOBAL__N_121bessel_j1_kernel_cudaERNS_18TensorIteratorBaseEENKUlvE_clEvENKUlvE0_clEvEUlfE_St5arrayIPcLm2EELi4E23TrivialOffsetCalculatorILi1EjESC_NS0_6memory15LoadWithoutCastENSD_16StoreWithoutCastEEEviT_T0_T2_T3_T4_T5_.num_agpr, max(0, .L_ZN3c104guts5applyIRZZZN2at6native12_GLOBAL__N_121bessel_j1_kernel_cudaERNS2_18TensorIteratorBaseEENKUlvE_clEvENKUlvE0_clEvEUlfE_RSt5tupleIJfEEEEDaOT_OT0_.num_agpr)
	.set _ZN2at6native27unrolled_elementwise_kernelIZZZNS0_12_GLOBAL__N_121bessel_j1_kernel_cudaERNS_18TensorIteratorBaseEENKUlvE_clEvENKUlvE0_clEvEUlfE_St5arrayIPcLm2EELi4E23TrivialOffsetCalculatorILi1EjESC_NS0_6memory15LoadWithoutCastENSD_16StoreWithoutCastEEEviT_T0_T2_T3_T4_T5_.numbered_sgpr, max(33, .L_ZN3c104guts5applyIRZZZN2at6native12_GLOBAL__N_121bessel_j1_kernel_cudaERNS2_18TensorIteratorBaseEENKUlvE_clEvENKUlvE0_clEvEUlfE_RSt5tupleIJfEEEEDaOT_OT0_.numbered_sgpr)
	.set _ZN2at6native27unrolled_elementwise_kernelIZZZNS0_12_GLOBAL__N_121bessel_j1_kernel_cudaERNS_18TensorIteratorBaseEENKUlvE_clEvENKUlvE0_clEvEUlfE_St5arrayIPcLm2EELi4E23TrivialOffsetCalculatorILi1EjESC_NS0_6memory15LoadWithoutCastENSD_16StoreWithoutCastEEEviT_T0_T2_T3_T4_T5_.num_named_barrier, max(0, .L_ZN3c104guts5applyIRZZZN2at6native12_GLOBAL__N_121bessel_j1_kernel_cudaERNS2_18TensorIteratorBaseEENKUlvE_clEvENKUlvE0_clEvEUlfE_RSt5tupleIJfEEEEDaOT_OT0_.num_named_barrier)
	.set _ZN2at6native27unrolled_elementwise_kernelIZZZNS0_12_GLOBAL__N_121bessel_j1_kernel_cudaERNS_18TensorIteratorBaseEENKUlvE_clEvENKUlvE0_clEvEUlfE_St5arrayIPcLm2EELi4E23TrivialOffsetCalculatorILi1EjESC_NS0_6memory15LoadWithoutCastENSD_16StoreWithoutCastEEEviT_T0_T2_T3_T4_T5_.private_seg_size, 0+max(.L_ZN3c104guts5applyIRZZZN2at6native12_GLOBAL__N_121bessel_j1_kernel_cudaERNS2_18TensorIteratorBaseEENKUlvE_clEvENKUlvE0_clEvEUlfE_RSt5tupleIJfEEEEDaOT_OT0_.private_seg_size)
	.set _ZN2at6native27unrolled_elementwise_kernelIZZZNS0_12_GLOBAL__N_121bessel_j1_kernel_cudaERNS_18TensorIteratorBaseEENKUlvE_clEvENKUlvE0_clEvEUlfE_St5arrayIPcLm2EELi4E23TrivialOffsetCalculatorILi1EjESC_NS0_6memory15LoadWithoutCastENSD_16StoreWithoutCastEEEviT_T0_T2_T3_T4_T5_.uses_vcc, or(1, .L_ZN3c104guts5applyIRZZZN2at6native12_GLOBAL__N_121bessel_j1_kernel_cudaERNS2_18TensorIteratorBaseEENKUlvE_clEvENKUlvE0_clEvEUlfE_RSt5tupleIJfEEEEDaOT_OT0_.uses_vcc)
	.set _ZN2at6native27unrolled_elementwise_kernelIZZZNS0_12_GLOBAL__N_121bessel_j1_kernel_cudaERNS_18TensorIteratorBaseEENKUlvE_clEvENKUlvE0_clEvEUlfE_St5arrayIPcLm2EELi4E23TrivialOffsetCalculatorILi1EjESC_NS0_6memory15LoadWithoutCastENSD_16StoreWithoutCastEEEviT_T0_T2_T3_T4_T5_.uses_flat_scratch, or(0, .L_ZN3c104guts5applyIRZZZN2at6native12_GLOBAL__N_121bessel_j1_kernel_cudaERNS2_18TensorIteratorBaseEENKUlvE_clEvENKUlvE0_clEvEUlfE_RSt5tupleIJfEEEEDaOT_OT0_.uses_flat_scratch)
	.set _ZN2at6native27unrolled_elementwise_kernelIZZZNS0_12_GLOBAL__N_121bessel_j1_kernel_cudaERNS_18TensorIteratorBaseEENKUlvE_clEvENKUlvE0_clEvEUlfE_St5arrayIPcLm2EELi4E23TrivialOffsetCalculatorILi1EjESC_NS0_6memory15LoadWithoutCastENSD_16StoreWithoutCastEEEviT_T0_T2_T3_T4_T5_.has_dyn_sized_stack, or(0, .L_ZN3c104guts5applyIRZZZN2at6native12_GLOBAL__N_121bessel_j1_kernel_cudaERNS2_18TensorIteratorBaseEENKUlvE_clEvENKUlvE0_clEvEUlfE_RSt5tupleIJfEEEEDaOT_OT0_.has_dyn_sized_stack)
	.set _ZN2at6native27unrolled_elementwise_kernelIZZZNS0_12_GLOBAL__N_121bessel_j1_kernel_cudaERNS_18TensorIteratorBaseEENKUlvE_clEvENKUlvE0_clEvEUlfE_St5arrayIPcLm2EELi4E23TrivialOffsetCalculatorILi1EjESC_NS0_6memory15LoadWithoutCastENSD_16StoreWithoutCastEEEviT_T0_T2_T3_T4_T5_.has_recursion, or(0, .L_ZN3c104guts5applyIRZZZN2at6native12_GLOBAL__N_121bessel_j1_kernel_cudaERNS2_18TensorIteratorBaseEENKUlvE_clEvENKUlvE0_clEvEUlfE_RSt5tupleIJfEEEEDaOT_OT0_.has_recursion)
	.set _ZN2at6native27unrolled_elementwise_kernelIZZZNS0_12_GLOBAL__N_121bessel_j1_kernel_cudaERNS_18TensorIteratorBaseEENKUlvE_clEvENKUlvE0_clEvEUlfE_St5arrayIPcLm2EELi4E23TrivialOffsetCalculatorILi1EjESC_NS0_6memory15LoadWithoutCastENSD_16StoreWithoutCastEEEviT_T0_T2_T3_T4_T5_.has_indirect_call, or(0, .L_ZN3c104guts5applyIRZZZN2at6native12_GLOBAL__N_121bessel_j1_kernel_cudaERNS2_18TensorIteratorBaseEENKUlvE_clEvENKUlvE0_clEvEUlfE_RSt5tupleIJfEEEEDaOT_OT0_.has_indirect_call)
	.section	.AMDGPU.csdata,"",@progbits
; Kernel info:
; codeLenInByte = 932
; TotalNumSgprs: 35
; NumVgprs: 42
; ScratchSize: 0
; MemoryBound: 0
; FloatMode: 240
; IeeeMode: 1
; LDSByteSize: 0 bytes/workgroup (compile time only)
; SGPRBlocks: 0
; VGPRBlocks: 5
; NumSGPRsForWavesPerEU: 35
; NumVGPRsForWavesPerEU: 42
; Occupancy: 16
; WaveLimiterHint : 0
; COMPUTE_PGM_RSRC2:SCRATCH_EN: 0
; COMPUTE_PGM_RSRC2:USER_SGPR: 6
; COMPUTE_PGM_RSRC2:TRAP_HANDLER: 0
; COMPUTE_PGM_RSRC2:TGID_X_EN: 1
; COMPUTE_PGM_RSRC2:TGID_Y_EN: 0
; COMPUTE_PGM_RSRC2:TGID_Z_EN: 0
; COMPUTE_PGM_RSRC2:TIDIG_COMP_CNT: 0
	.text
	.p2align	2                               ; -- Begin function _ZN2at6native6invokeIZZZNS0_12_GLOBAL__N_121bessel_j1_kernel_cudaERNS_18TensorIteratorBaseEENKUlvE_clEvENKUlvE0_clEvEUlfE_j15function_traitsIS7_EEENT1_11result_typeERKT_PrKPcPKT0_i
	.type	_ZN2at6native6invokeIZZZNS0_12_GLOBAL__N_121bessel_j1_kernel_cudaERNS_18TensorIteratorBaseEENKUlvE_clEvENKUlvE0_clEvEUlfE_j15function_traitsIS7_EEENT1_11result_typeERKT_PrKPcPKT0_i,@function
_ZN2at6native6invokeIZZZNS0_12_GLOBAL__N_121bessel_j1_kernel_cudaERNS_18TensorIteratorBaseEENKUlvE_clEvENKUlvE0_clEvEUlfE_j15function_traitsIS7_EEENT1_11result_typeERKT_PrKPcPKT0_i: ; @_ZN2at6native6invokeIZZZNS0_12_GLOBAL__N_121bessel_j1_kernel_cudaERNS_18TensorIteratorBaseEENKUlvE_clEvENKUlvE0_clEvEUlfE_j15function_traitsIS7_EEENT1_11result_typeERKT_PrKPcPKT0_i
; %bb.0:
	s_waitcnt vmcnt(0) expcnt(0) lgkmcnt(0)
	v_add_co_u32 v0, vcc_lo, v0, v2
	v_add_co_ci_u32_e64 v1, null, 0, v1, vcc_lo
	s_mov_b32 s4, exec_lo
	flat_load_dword v1, v[0:1]
                                        ; implicit-def: $vgpr0
	s_waitcnt vmcnt(0) lgkmcnt(0)
	v_cmpx_ngt_f32_e32 0, v1
	s_xor_b32 s7, exec_lo, s4
	s_cbranch_execz .LBB15_6
; %bb.1:
	s_mov_b32 s4, exec_lo
                                        ; implicit-def: $vgpr0
	v_cmpx_ge_f32_e32 0x40a00000, v1
	s_xor_b32 s4, exec_lo, s4
	s_cbranch_execz .LBB15_3
; %bb.2:
	v_mul_f32_e32 v0, v1, v1
	v_fmaak_f32 v2, 0, v0, 0x441b3589
	v_fmaak_f32 v3, 0, v0, 0xce5691e2
	;; [unrolled: 1-line block ×12, first 2 shown]
	v_div_scale_f32 v2, null, v0, v0, v3
	v_div_scale_f32 v6, vcc_lo, v3, v0, v3
	v_rcp_f32_e32 v4, v2
	v_fma_f32 v5, -v2, v4, 1.0
	v_fmac_f32_e32 v4, v5, v4
	v_mul_f32_e32 v5, v6, v4
	v_fma_f32 v7, -v2, v5, v6
	v_fmac_f32_e32 v5, v7, v4
	v_fma_f32 v2, -v2, v5, v6
	v_div_fmas_f32 v2, v2, v4, v5
	v_div_fixup_f32 v0, v2, v0, v3
	v_fmaak_f32 v2, v1, v1, 0xc16ae95a
	v_mul_f32_e32 v0, v1, v0
	v_fmaak_f32 v1, v1, v1, 0xc244dfb3
	v_mul_f32_e32 v0, v2, v0
	v_mul_f32_e32 v0, v1, v0
                                        ; implicit-def: $vgpr1
.LBB15_3:
	s_andn2_saveexec_b32 s8, s4
	s_cbranch_execz .LBB15_23
; %bb.4:
	v_add_f32_e32 v0, 0xc016cbe4, v1
                                        ; implicit-def: $vgpr4
                                        ; implicit-def: $vgpr3
	v_and_b32_e32 v2, 0x7fffffff, v0
	v_cmp_ngt_f32_e64 s6, 0x48000000, |v0|
	v_lshrrev_b32_e32 v6, 23, v2
	s_and_saveexec_b32 s4, s6
	s_xor_b32 s9, exec_lo, s4
	s_cbranch_execz .LBB15_12
; %bb.5:
	s_mov_b32 s4, 0x7fffff
	v_mov_b32_e32 v5, 0
	v_and_or_b32 v13, v2, s4, 0x800000
	v_add_nc_u32_e32 v12, 0xffffff88, v6
	v_mad_u64_u32 v[3:4], null, 0xfe5163ab, v13, 0
	v_cmp_lt_u32_e32 vcc_lo, 63, v12
	v_cndmask_b32_e64 v14, 0, 0xffffffc0, vcc_lo
	v_mad_u64_u32 v[7:8], null, 0x3c439041, v13, v[4:5]
	v_add_nc_u32_e32 v14, v14, v12
	v_mov_b32_e32 v4, v8
	v_cmp_lt_u32_e64 s4, 31, v14
	v_mad_u64_u32 v[8:9], null, 0xdb629599, v13, v[4:5]
	v_cndmask_b32_e64 v15, 0, 0xffffffe0, s4
	v_mov_b32_e32 v4, v9
	v_cndmask_b32_e32 v3, v8, v3, vcc_lo
	v_mad_u64_u32 v[9:10], null, 0xf534ddc0, v13, v[4:5]
	v_mov_b32_e32 v4, v10
	v_cndmask_b32_e32 v7, v9, v7, vcc_lo
	v_mad_u64_u32 v[10:11], null, 0xfc2757d1, v13, v[4:5]
	v_cndmask_b32_e64 v3, v7, v3, s4
	v_mov_b32_e32 v4, v11
	v_mad_u64_u32 v[11:12], null, 0x4e441529, v13, v[4:5]
	v_mov_b32_e32 v4, v12
	v_add_nc_u32_e32 v12, v15, v14
	v_cndmask_b32_e32 v14, v11, v9, vcc_lo
	v_mad_u64_u32 v[4:5], null, 0xa2f9836e, v13, v[4:5]
	v_cmp_lt_u32_e64 s5, 31, v12
	v_cndmask_b32_e64 v13, 0, 0xffffffe0, s5
	v_cndmask_b32_e32 v4, v4, v10, vcc_lo
	v_cndmask_b32_e32 v5, v5, v11, vcc_lo
	;; [unrolled: 1-line block ×3, first 2 shown]
	v_add_nc_u32_e32 v11, v13, v12
	v_cndmask_b32_e64 v9, v4, v14, s4
	v_cndmask_b32_e64 v4, v5, v4, s4
	;; [unrolled: 1-line block ×4, first 2 shown]
	v_sub_nc_u32_e32 v12, 32, v11
	v_cmp_eq_u32_e32 vcc_lo, 0, v11
	v_cndmask_b32_e64 v4, v4, v9, s5
	v_cndmask_b32_e64 v9, v9, v5, s5
	;; [unrolled: 1-line block ×4, first 2 shown]
	v_alignbit_b32 v13, v4, v9, v12
	v_alignbit_b32 v8, v9, v5, v12
	;; [unrolled: 1-line block ×3, first 2 shown]
	v_cndmask_b32_e32 v4, v13, v4, vcc_lo
	v_cndmask_b32_e32 v7, v8, v9, vcc_lo
	;; [unrolled: 1-line block ×3, first 2 shown]
	v_bfe_u32 v8, v4, 29, 1
	v_alignbit_b32 v9, v4, v7, 30
	v_alignbit_b32 v7, v7, v5, 30
	;; [unrolled: 1-line block ×3, first 2 shown]
	v_sub_nc_u32_e32 v10, 0, v8
	v_xor_b32_e32 v9, v9, v10
	v_xor_b32_e32 v5, v7, v10
	;; [unrolled: 1-line block ×3, first 2 shown]
	v_lshrrev_b32_e32 v10, 29, v4
	v_lshrrev_b32_e32 v4, 30, v4
	v_ffbh_u32_e32 v11, v9
	v_add_nc_u32_e32 v4, v8, v4
	v_min_u32_e32 v11, 32, v11
	v_sub_nc_u32_e32 v7, 31, v11
	v_lshlrev_b32_e32 v12, 23, v11
	v_alignbit_b32 v9, v9, v5, v7
	v_alignbit_b32 v3, v5, v3, v7
	v_lshlrev_b32_e32 v5, 31, v10
	v_alignbit_b32 v7, v9, v3, 9
	v_or_b32_e32 v10, 0.5, v5
	v_lshrrev_b32_e32 v9, 9, v9
	v_or_b32_e32 v5, 0x33000000, v5
	v_ffbh_u32_e32 v13, v7
	v_sub_nc_u32_e32 v10, v10, v12
	v_min_u32_e32 v12, 32, v13
	v_or_b32_e32 v9, v9, v10
	v_not_b32_e32 v10, v12
	v_mul_f32_e32 v13, 0x3fc90fda, v9
	v_add_lshl_u32 v11, v12, v11, 23
	v_alignbit_b32 v3, v7, v3, v10
	v_fma_f32 v7, 0x3fc90fda, v9, -v13
	v_sub_nc_u32_e32 v5, v5, v11
	v_lshrrev_b32_e32 v3, 9, v3
	v_fmamk_f32 v7, v9, 0x33a22168, v7
	v_or_b32_e32 v3, v5, v3
	v_fmac_f32_e32 v7, 0x3fc90fda, v3
	v_add_f32_e32 v3, v13, v7
	s_or_saveexec_b32 s4, s9
	v_mul_f32_e64 v8, 0x3f22f983, |v0|
	s_xor_b32 exec_lo, exec_lo, s4
	s_branch .LBB15_13
.LBB15_6:
	s_andn2_saveexec_b32 s8, s7
	s_cbranch_execz .LBB15_24
.LBB15_7:
	s_mov_b32 s4, exec_lo
                                        ; implicit-def: $vgpr0
	v_cmpx_le_f32_e32 0xc0a00000, v1
	s_xor_b32 s4, exec_lo, s4
	s_cbranch_execz .LBB15_9
; %bb.8:
	v_mul_f32_e32 v0, v1, v1
	v_fmaak_f32 v2, 0, v0, 0x441b3589
	v_fmaak_f32 v3, 0, v0, 0xce5691e2
	;; [unrolled: 1-line block ×12, first 2 shown]
	v_div_scale_f32 v2, null, v0, v0, v3
	v_div_scale_f32 v6, vcc_lo, v3, v0, v3
	v_rcp_f32_e32 v4, v2
	v_fma_f32 v5, -v2, v4, 1.0
	v_fmac_f32_e32 v4, v5, v4
	v_mul_f32_e32 v5, v6, v4
	v_fma_f32 v7, -v2, v5, v6
	v_fmac_f32_e32 v5, v7, v4
	v_fma_f32 v2, -v2, v5, v6
	v_div_fmas_f32 v2, v2, v4, v5
	v_div_fixup_f32 v0, v2, v0, v3
	v_fmaak_f32 v2, v1, v1, 0xc16ae95a
	v_mul_f32_e64 v0, v0, -v1
	v_fmaak_f32 v1, v1, v1, 0xc244dfb3
	v_mul_f32_e32 v0, v2, v0
	v_mul_f32_e32 v0, v1, v0
                                        ; implicit-def: $vgpr1
.LBB15_9:
	s_andn2_saveexec_b32 s9, s4
	s_cbranch_execz .LBB15_28
; %bb.10:
	v_sub_f32_e32 v0, 0xc016cbe4, v1
                                        ; implicit-def: $vgpr4
                                        ; implicit-def: $vgpr3
	v_and_b32_e32 v2, 0x7fffffff, v0
	v_cmp_ngt_f32_e64 s6, 0x48000000, |v0|
	v_lshrrev_b32_e32 v6, 23, v2
	s_and_saveexec_b32 s4, s6
	s_xor_b32 s7, exec_lo, s4
	s_cbranch_execz .LBB15_16
; %bb.11:
	s_mov_b32 s4, 0x7fffff
	v_mov_b32_e32 v5, 0
	v_and_or_b32 v13, v2, s4, 0x800000
	v_add_nc_u32_e32 v12, 0xffffff88, v6
	v_mad_u64_u32 v[3:4], null, 0xfe5163ab, v13, 0
	v_cmp_lt_u32_e32 vcc_lo, 63, v12
	v_cndmask_b32_e64 v14, 0, 0xffffffc0, vcc_lo
	v_mad_u64_u32 v[7:8], null, 0x3c439041, v13, v[4:5]
	v_add_nc_u32_e32 v14, v14, v12
	v_mov_b32_e32 v4, v8
	v_cmp_lt_u32_e64 s4, 31, v14
	v_mad_u64_u32 v[8:9], null, 0xdb629599, v13, v[4:5]
	v_cndmask_b32_e64 v15, 0, 0xffffffe0, s4
	v_mov_b32_e32 v4, v9
	v_cndmask_b32_e32 v3, v8, v3, vcc_lo
	v_mad_u64_u32 v[9:10], null, 0xf534ddc0, v13, v[4:5]
	v_mov_b32_e32 v4, v10
	v_cndmask_b32_e32 v7, v9, v7, vcc_lo
	v_mad_u64_u32 v[10:11], null, 0xfc2757d1, v13, v[4:5]
	v_cndmask_b32_e64 v3, v7, v3, s4
	v_mov_b32_e32 v4, v11
	v_mad_u64_u32 v[11:12], null, 0x4e441529, v13, v[4:5]
	v_mov_b32_e32 v4, v12
	v_add_nc_u32_e32 v12, v15, v14
	v_cndmask_b32_e32 v14, v11, v9, vcc_lo
	v_mad_u64_u32 v[4:5], null, 0xa2f9836e, v13, v[4:5]
	v_cmp_lt_u32_e64 s5, 31, v12
	v_cndmask_b32_e64 v13, 0, 0xffffffe0, s5
	v_cndmask_b32_e32 v4, v4, v10, vcc_lo
	v_cndmask_b32_e32 v5, v5, v11, vcc_lo
	v_cndmask_b32_e32 v10, v10, v8, vcc_lo
	v_add_nc_u32_e32 v11, v13, v12
	v_cndmask_b32_e64 v9, v4, v14, s4
	v_cndmask_b32_e64 v4, v5, v4, s4
	;; [unrolled: 1-line block ×4, first 2 shown]
	v_sub_nc_u32_e32 v12, 32, v11
	v_cmp_eq_u32_e32 vcc_lo, 0, v11
	v_cndmask_b32_e64 v4, v4, v9, s5
	v_cndmask_b32_e64 v9, v9, v5, s5
	;; [unrolled: 1-line block ×4, first 2 shown]
	v_alignbit_b32 v13, v4, v9, v12
	v_alignbit_b32 v8, v9, v5, v12
	;; [unrolled: 1-line block ×3, first 2 shown]
	v_cndmask_b32_e32 v4, v13, v4, vcc_lo
	v_cndmask_b32_e32 v7, v8, v9, vcc_lo
	;; [unrolled: 1-line block ×3, first 2 shown]
	v_bfe_u32 v8, v4, 29, 1
	v_alignbit_b32 v9, v4, v7, 30
	v_alignbit_b32 v7, v7, v5, 30
	;; [unrolled: 1-line block ×3, first 2 shown]
	v_sub_nc_u32_e32 v10, 0, v8
	v_xor_b32_e32 v9, v9, v10
	v_xor_b32_e32 v5, v7, v10
	;; [unrolled: 1-line block ×3, first 2 shown]
	v_lshrrev_b32_e32 v10, 29, v4
	v_lshrrev_b32_e32 v4, 30, v4
	v_ffbh_u32_e32 v11, v9
	v_add_nc_u32_e32 v4, v8, v4
	v_min_u32_e32 v11, 32, v11
	v_sub_nc_u32_e32 v7, 31, v11
	v_lshlrev_b32_e32 v12, 23, v11
	v_alignbit_b32 v9, v9, v5, v7
	v_alignbit_b32 v3, v5, v3, v7
	v_lshlrev_b32_e32 v5, 31, v10
	v_alignbit_b32 v7, v9, v3, 9
	v_or_b32_e32 v10, 0.5, v5
	v_lshrrev_b32_e32 v9, 9, v9
	v_or_b32_e32 v5, 0x33000000, v5
	v_ffbh_u32_e32 v13, v7
	v_sub_nc_u32_e32 v10, v10, v12
	v_min_u32_e32 v12, 32, v13
	v_or_b32_e32 v9, v9, v10
	v_not_b32_e32 v10, v12
	v_mul_f32_e32 v13, 0x3fc90fda, v9
	v_add_lshl_u32 v11, v12, v11, 23
	v_alignbit_b32 v3, v7, v3, v10
	v_fma_f32 v7, 0x3fc90fda, v9, -v13
	v_sub_nc_u32_e32 v5, v5, v11
	v_lshrrev_b32_e32 v3, 9, v3
	v_fmamk_f32 v7, v9, 0x33a22168, v7
	v_or_b32_e32 v3, v5, v3
	v_fmac_f32_e32 v7, 0x3fc90fda, v3
	v_add_f32_e32 v3, v13, v7
	s_or_saveexec_b32 s4, s7
	v_mul_f32_e64 v8, 0x3f22f983, |v0|
	s_xor_b32 exec_lo, exec_lo, s4
	s_branch .LBB15_17
.LBB15_12:
	s_or_saveexec_b32 s4, s9
	v_mul_f32_e64 v8, 0x3f22f983, |v0|
	s_xor_b32 exec_lo, exec_lo, s4
.LBB15_13:
	v_rndne_f32_e32 v4, v8
	v_fma_f32 v3, 0xbfc90fda, v4, |v0|
	v_fmamk_f32 v3, v4, 0xb3a22168, v3
	v_fmamk_f32 v3, v4, 0xa7c234c4, v3
	v_cvt_i32_f32_e32 v4, v4
; %bb.14:
	s_or_b32 exec_lo, exec_lo, s4
                                        ; implicit-def: $vgpr7
                                        ; implicit-def: $vgpr5
	s_and_saveexec_b32 s4, s6
	s_xor_b32 s6, exec_lo, s4
	s_cbranch_execz .LBB15_20
; %bb.15:
	s_mov_b32 s4, 0x7fffff
	v_mov_b32_e32 v9, 0
	v_and_or_b32 v15, v2, s4, 0x800000
	v_mad_u64_u32 v[7:8], null, 0xfe5163ab, v15, 0
	v_mad_u64_u32 v[10:11], null, 0x3c439041, v15, v[8:9]
	v_mov_b32_e32 v8, v11
	v_mad_u64_u32 v[11:12], null, 0xdb629599, v15, v[8:9]
	v_mov_b32_e32 v8, v12
	;; [unrolled: 2-line block ×3, first 2 shown]
	v_add_nc_u32_e32 v13, 0xffffff88, v6
	v_mad_u64_u32 v[5:6], null, 0xfc2757d1, v15, v[8:9]
	v_cmp_lt_u32_e32 vcc_lo, 63, v13
	v_cndmask_b32_e64 v14, 0, 0xffffffc0, vcc_lo
	v_mov_b32_e32 v8, v6
	v_cndmask_b32_e32 v10, v12, v10, vcc_lo
	v_cndmask_b32_e32 v7, v11, v7, vcc_lo
	v_add_nc_u32_e32 v6, v14, v13
	v_mad_u64_u32 v[13:14], null, 0x4e441529, v15, v[8:9]
	v_cmp_lt_u32_e64 s4, 31, v6
	v_mov_b32_e32 v8, v14
	v_cndmask_b32_e64 v16, 0, 0xffffffe0, s4
	v_cndmask_b32_e64 v7, v10, v7, s4
	v_mad_u64_u32 v[8:9], null, 0xa2f9836e, v15, v[8:9]
	v_add_nc_u32_e32 v6, v16, v6
	v_cndmask_b32_e32 v15, v13, v12, vcc_lo
	v_cmp_lt_u32_e64 s5, 31, v6
	v_cndmask_b32_e32 v8, v8, v5, vcc_lo
	v_cndmask_b32_e32 v9, v9, v13, vcc_lo
	v_cndmask_b32_e32 v5, v5, v11, vcc_lo
	v_cndmask_b32_e64 v14, 0, 0xffffffe0, s5
	v_cndmask_b32_e64 v12, v8, v15, s4
	;; [unrolled: 1-line block ×5, first 2 shown]
	v_add_nc_u32_e32 v6, v14, v6
	v_cndmask_b32_e64 v8, v8, v12, s5
	v_cndmask_b32_e64 v12, v12, v9, s5
	;; [unrolled: 1-line block ×3, first 2 shown]
	v_sub_nc_u32_e32 v13, 32, v6
	v_cmp_eq_u32_e32 vcc_lo, 0, v6
	v_cndmask_b32_e64 v5, v5, v7, s5
	v_alignbit_b32 v14, v8, v12, v13
	v_alignbit_b32 v11, v12, v9, v13
	v_cndmask_b32_e32 v6, v14, v8, vcc_lo
	v_cndmask_b32_e32 v8, v11, v12, vcc_lo
	v_alignbit_b32 v12, v9, v5, v13
	v_bfe_u32 v10, v6, 29, 1
	v_alignbit_b32 v7, v6, v8, 30
	v_cndmask_b32_e32 v9, v12, v9, vcc_lo
	v_sub_nc_u32_e32 v11, 0, v10
	v_alignbit_b32 v8, v8, v9, 30
	v_alignbit_b32 v5, v9, v5, 30
	v_xor_b32_e32 v7, v7, v11
	v_xor_b32_e32 v8, v8, v11
	;; [unrolled: 1-line block ×3, first 2 shown]
	v_lshrrev_b32_e32 v11, 29, v6
	v_ffbh_u32_e32 v12, v7
	v_lshrrev_b32_e32 v6, 30, v6
	v_min_u32_e32 v12, 32, v12
	v_sub_nc_u32_e32 v9, 31, v12
	v_lshlrev_b32_e32 v13, 23, v12
	v_alignbit_b32 v7, v7, v8, v9
	v_alignbit_b32 v5, v8, v5, v9
	v_lshlrev_b32_e32 v8, 31, v11
	v_alignbit_b32 v9, v7, v5, 9
	v_or_b32_e32 v11, 0.5, v8
	v_lshrrev_b32_e32 v7, 9, v7
	v_or_b32_e32 v8, 0x33000000, v8
	v_ffbh_u32_e32 v14, v9
	v_sub_nc_u32_e32 v11, v11, v13
	v_min_u32_e32 v13, 32, v14
	v_or_b32_e32 v7, v7, v11
	v_not_b32_e32 v11, v13
	v_mul_f32_e32 v14, 0x3fc90fda, v7
	v_add_lshl_u32 v12, v13, v12, 23
	v_alignbit_b32 v5, v9, v5, v11
	v_fma_f32 v9, 0x3fc90fda, v7, -v14
	v_sub_nc_u32_e32 v8, v8, v12
	v_lshrrev_b32_e32 v5, 9, v5
	v_fmamk_f32 v7, v7, 0x33a22168, v9
	v_or_b32_e32 v5, v8, v5
                                        ; implicit-def: $vgpr8
	v_fmac_f32_e32 v7, 0x3fc90fda, v5
	v_add_f32_e32 v5, v14, v7
	v_add_nc_u32_e32 v7, v10, v6
	s_andn2_saveexec_b32 s4, s6
	s_cbranch_execnz .LBB15_21
	s_branch .LBB15_22
.LBB15_16:
	s_or_saveexec_b32 s4, s7
	v_mul_f32_e64 v8, 0x3f22f983, |v0|
	s_xor_b32 exec_lo, exec_lo, s4
.LBB15_17:
	v_rndne_f32_e32 v4, v8
	v_fma_f32 v3, 0xbfc90fda, v4, |v0|
	v_fmamk_f32 v3, v4, 0xb3a22168, v3
	v_fmamk_f32 v3, v4, 0xa7c234c4, v3
	v_cvt_i32_f32_e32 v4, v4
; %bb.18:
	s_or_b32 exec_lo, exec_lo, s4
                                        ; implicit-def: $vgpr7
                                        ; implicit-def: $vgpr5
	s_and_saveexec_b32 s4, s6
	s_xor_b32 s6, exec_lo, s4
	s_cbranch_execz .LBB15_25
; %bb.19:
	s_mov_b32 s4, 0x7fffff
	v_mov_b32_e32 v9, 0
	v_and_or_b32 v15, v2, s4, 0x800000
	v_mad_u64_u32 v[7:8], null, 0xfe5163ab, v15, 0
	v_mad_u64_u32 v[10:11], null, 0x3c439041, v15, v[8:9]
	v_mov_b32_e32 v8, v11
	v_mad_u64_u32 v[11:12], null, 0xdb629599, v15, v[8:9]
	v_mov_b32_e32 v8, v12
	v_mad_u64_u32 v[12:13], null, 0xf534ddc0, v15, v[8:9]
	v_mov_b32_e32 v8, v13
	v_add_nc_u32_e32 v13, 0xffffff88, v6
	v_mad_u64_u32 v[5:6], null, 0xfc2757d1, v15, v[8:9]
	v_cmp_lt_u32_e32 vcc_lo, 63, v13
	v_cndmask_b32_e64 v14, 0, 0xffffffc0, vcc_lo
	v_mov_b32_e32 v8, v6
	v_cndmask_b32_e32 v10, v12, v10, vcc_lo
	v_cndmask_b32_e32 v7, v11, v7, vcc_lo
	v_add_nc_u32_e32 v6, v14, v13
	v_mad_u64_u32 v[13:14], null, 0x4e441529, v15, v[8:9]
	v_cmp_lt_u32_e64 s4, 31, v6
	v_mov_b32_e32 v8, v14
	v_cndmask_b32_e64 v16, 0, 0xffffffe0, s4
	v_cndmask_b32_e64 v7, v10, v7, s4
	v_mad_u64_u32 v[8:9], null, 0xa2f9836e, v15, v[8:9]
	v_add_nc_u32_e32 v6, v16, v6
	v_cndmask_b32_e32 v15, v13, v12, vcc_lo
	v_cmp_lt_u32_e64 s5, 31, v6
	v_cndmask_b32_e32 v8, v8, v5, vcc_lo
	v_cndmask_b32_e32 v9, v9, v13, vcc_lo
	;; [unrolled: 1-line block ×3, first 2 shown]
	v_cndmask_b32_e64 v14, 0, 0xffffffe0, s5
	v_cndmask_b32_e64 v12, v8, v15, s4
	;; [unrolled: 1-line block ×5, first 2 shown]
	v_add_nc_u32_e32 v6, v14, v6
	v_cndmask_b32_e64 v8, v8, v12, s5
	v_cndmask_b32_e64 v12, v12, v9, s5
	;; [unrolled: 1-line block ×3, first 2 shown]
	v_sub_nc_u32_e32 v13, 32, v6
	v_cmp_eq_u32_e32 vcc_lo, 0, v6
	v_cndmask_b32_e64 v5, v5, v7, s5
	v_alignbit_b32 v14, v8, v12, v13
	v_alignbit_b32 v11, v12, v9, v13
	v_cndmask_b32_e32 v6, v14, v8, vcc_lo
	v_cndmask_b32_e32 v8, v11, v12, vcc_lo
	v_alignbit_b32 v12, v9, v5, v13
	v_bfe_u32 v10, v6, 29, 1
	v_alignbit_b32 v7, v6, v8, 30
	v_cndmask_b32_e32 v9, v12, v9, vcc_lo
	v_sub_nc_u32_e32 v11, 0, v10
	v_alignbit_b32 v8, v8, v9, 30
	v_alignbit_b32 v5, v9, v5, 30
	v_xor_b32_e32 v7, v7, v11
	v_xor_b32_e32 v8, v8, v11
	;; [unrolled: 1-line block ×3, first 2 shown]
	v_lshrrev_b32_e32 v11, 29, v6
	v_ffbh_u32_e32 v12, v7
	v_lshrrev_b32_e32 v6, 30, v6
	v_min_u32_e32 v12, 32, v12
	v_sub_nc_u32_e32 v9, 31, v12
	v_lshlrev_b32_e32 v13, 23, v12
	v_alignbit_b32 v7, v7, v8, v9
	v_alignbit_b32 v5, v8, v5, v9
	v_lshlrev_b32_e32 v8, 31, v11
	v_alignbit_b32 v9, v7, v5, 9
	v_or_b32_e32 v11, 0.5, v8
	v_lshrrev_b32_e32 v7, 9, v7
	v_or_b32_e32 v8, 0x33000000, v8
	v_ffbh_u32_e32 v14, v9
	v_sub_nc_u32_e32 v11, v11, v13
	v_min_u32_e32 v13, 32, v14
	v_or_b32_e32 v7, v7, v11
	v_not_b32_e32 v11, v13
	v_mul_f32_e32 v14, 0x3fc90fda, v7
	v_add_lshl_u32 v12, v13, v12, 23
	v_alignbit_b32 v5, v9, v5, v11
	v_fma_f32 v9, 0x3fc90fda, v7, -v14
	v_sub_nc_u32_e32 v8, v8, v12
	v_lshrrev_b32_e32 v5, 9, v5
	v_fmamk_f32 v7, v7, 0x33a22168, v9
	v_or_b32_e32 v5, v8, v5
                                        ; implicit-def: $vgpr8
	v_fmac_f32_e32 v7, 0x3fc90fda, v5
	v_add_f32_e32 v5, v14, v7
	v_add_nc_u32_e32 v7, v10, v6
	s_andn2_saveexec_b32 s4, s6
	s_cbranch_execnz .LBB15_26
	s_branch .LBB15_27
.LBB15_20:
	s_andn2_saveexec_b32 s4, s6
.LBB15_21:
	v_rndne_f32_e32 v6, v8
	v_fma_f32 v5, 0xbfc90fda, v6, |v0|
	v_cvt_i32_f32_e32 v7, v6
	v_fmamk_f32 v5, v6, 0xb3a22168, v5
	v_fmamk_f32 v5, v6, 0xa7c234c4, v5
.LBB15_22:
	s_or_b32 exec_lo, exec_lo, s4
	v_div_scale_f32 v6, null, v1, v1, 0x40a00000
	v_div_scale_f32 v10, vcc_lo, 0x40a00000, v1, 0x40a00000
	s_mov_b32 s4, 0xb94c1982
	v_rcp_f32_e32 v8, v6
	v_mul_f32_e32 v17, 0x4f800000, v1
	s_mov_b32 s5, 0x37d75334
	v_and_b32_e32 v12, 1, v7
	v_lshlrev_b32_e32 v7, 30, v7
	v_xor_b32_e32 v2, v2, v0
	v_and_b32_e32 v7, 0x80000000, v7
	v_fma_f32 v9, -v6, v8, 1.0
	v_fmac_f32_e32 v8, v9, v8
	v_mul_f32_e32 v9, v10, v8
	v_fma_f32 v11, -v6, v9, v10
	v_fmac_f32_e32 v9, v11, v8
	v_mul_f32_e32 v11, v5, v5
	v_fma_f32 v6, -v6, v9, v10
	v_fmaak_f32 v20, s4, v11, 0x3c0881c4
	v_fmaak_f32 v21, s5, v11, 0xbab64f3b
	v_div_fmas_f32 v6, v6, v8, v9
	v_mul_f32_e32 v8, v3, v3
	v_fmaak_f32 v21, v11, v21, 0x3d2aabf7
	v_and_b32_e32 v9, 1, v4
	v_fmaak_f32 v20, v11, v20, 0xbe2aaa9d
	v_div_fixup_f32 v6, v6, v1, 0x40a00000
	v_fmaak_f32 v18, s4, v8, 0x3c0881c4
	v_cmp_gt_f32_e64 s4, 0xf800000, v1
	v_fmaak_f32 v19, s5, v8, 0xbab64f3b
	v_fmaak_f32 v21, v11, v21, 0xbf000004
	v_mul_f32_e32 v10, v6, v6
	v_fmaak_f32 v18, v8, v18, 0xbe2aaa9d
	v_cndmask_b32_e64 v1, v1, v17, s4
	v_fmaak_f32 v19, v8, v19, 0x3d2aabf7
	v_mul_f32_e32 v20, v11, v20
	v_fmaak_f32 v13, 0, v10, 0x3d513fd3
	v_fmaak_f32 v14, 0, v10, 0x3a15c4d9
	;; [unrolled: 1-line block ×4, first 2 shown]
	v_mul_f32_e32 v18, v8, v18
	v_fmaak_f32 v13, v10, v13, 0x409f6dae
	v_fmaak_f32 v14, v10, v14, 0x3d8cfeeb
	;; [unrolled: 1-line block ×9, first 2 shown]
	v_fmac_f32_e32 v3, v3, v18
	v_fmaak_f32 v13, v10, v13, 0x43b763ca
	v_fmaak_f32 v14, v10, v14, 0x40a25d18
	;; [unrolled: 1-line block ×4, first 2 shown]
	v_sqrt_f32_e32 v24, v1
	v_fmaak_f32 v13, v10, v13, 0x4431b6ce
	v_fmaak_f32 v14, v10, v14, 0x410665cf
	;; [unrolled: 1-line block ×4, first 2 shown]
	v_fma_f32 v8, v8, v19, 1.0
	v_fmaak_f32 v13, v10, v13, 0x44155f56
	v_fmaak_f32 v14, v10, v14, 0x40a6b6ea
	;; [unrolled: 1-line block ×4, first 2 shown]
	v_fma_f32 v11, v11, v21, 1.0
	v_fmaak_f32 v13, v10, v13, 0x4353b052
	v_fma_f32 v14, v10, v14, 1.0
	v_fma_f32 v15, v10, v15, 1.0
	v_fmaak_f32 v16, v10, v16, 0x43a80bfb
	v_cmp_eq_u32_e64 s6, 0, v9
	v_fmaak_f32 v10, v10, v13, 0x41c9a7fa
	v_lshlrev_b32_e32 v4, 30, v4
	v_div_scale_f32 v13, null, v14, v14, v15
	v_div_scale_f32 v27, vcc_lo, v15, v14, v15
	v_div_scale_f32 v22, null, v16, v16, v10
	v_rcp_f32_e32 v17, v13
	v_fmac_f32_e32 v5, v5, v20
	v_cndmask_b32_e64 v3, -v3, v8, s6
	v_rcp_f32_e32 v23, v22
	v_cmp_eq_u32_e64 s6, 0, v12
	v_and_b32_e32 v4, 0x80000000, v4
	v_add_nc_u32_e32 v20, -1, v24
	v_cndmask_b32_e64 v5, v11, v5, s6
	v_fma_f32 v25, -v13, v17, 1.0
	v_fma_f32 v8, -v20, v24, v1
	v_xor_b32_e32 v3, v4, v3
	v_fma_f32 v26, -v22, v23, 1.0
	v_xor3_b32 v2, v2, v7, v5
	v_fmac_f32_e32 v17, v25, v17
	v_div_scale_f32 v25, s5, v10, v16, v10
	v_fmac_f32_e32 v23, v26, v23
	v_add_nc_u32_e32 v26, 1, v24
	v_mul_f32_e32 v18, v27, v17
	v_mul_f32_e32 v19, v25, v23
	v_fma_f32 v9, -v26, v24, v1
	v_fma_f32 v21, -v13, v18, v27
	;; [unrolled: 1-line block ×3, first 2 shown]
	v_fmac_f32_e32 v18, v21, v17
	v_fmac_f32_e32 v19, v28, v23
	v_fma_f32 v11, -v13, v18, v27
	v_fma_f32 v4, -v22, v19, v25
	v_div_fmas_f32 v11, v11, v17, v18
	s_mov_b32 vcc_lo, s5
	v_cmp_ge_f32_e64 s5, 0, v8
	v_div_fmas_f32 v4, v4, v23, v19
	v_cmp_class_f32_e64 vcc_lo, v0, 0x1f8
	v_cndmask_b32_e64 v0, v24, v20, s5
	v_div_fixup_f32 v4, v4, v16, v10
	v_cmp_lt_f32_e64 s5, 0, v9
	v_cndmask_b32_e32 v2, 0x7fc00000, v2, vcc_lo
	v_cndmask_b32_e32 v3, 0x7fc00000, v3, vcc_lo
	v_cmp_class_f32_e64 vcc_lo, v1, 0x260
	v_mul_f32_e32 v4, v6, v4
	v_cndmask_b32_e64 v0, v0, v26, s5
	v_div_fixup_f32 v6, v11, v14, v15
	v_mul_f32_e32 v2, v4, v2
	v_mul_f32_e32 v5, 0x37800000, v0
	v_fma_f32 v2, v6, v3, -v2
	v_cndmask_b32_e64 v0, v0, v5, s4
	v_cndmask_b32_e32 v0, v0, v1, vcc_lo
	v_mul_f32_e32 v1, 0x3f4c422a, v2
	v_div_scale_f32 v2, null, v0, v0, v1
	v_rcp_f32_e32 v3, v2
	v_fma_f32 v4, -v2, v3, 1.0
	v_fmac_f32_e32 v3, v4, v3
	v_div_scale_f32 v4, vcc_lo, v1, v0, v1
	v_mul_f32_e32 v5, v4, v3
	v_fma_f32 v6, -v2, v5, v4
	v_fmac_f32_e32 v5, v6, v3
	v_fma_f32 v2, -v2, v5, v4
	v_div_fmas_f32 v2, v2, v3, v5
	v_div_fixup_f32 v0, v2, v0, v1
.LBB15_23:
	s_or_b32 exec_lo, exec_lo, s8
                                        ; implicit-def: $vgpr1
	s_andn2_saveexec_b32 s8, s7
	s_cbranch_execnz .LBB15_7
.LBB15_24:
	s_or_b32 exec_lo, exec_lo, s8
	s_setpc_b64 s[30:31]
.LBB15_25:
	s_andn2_saveexec_b32 s4, s6
.LBB15_26:
	v_rndne_f32_e32 v6, v8
	v_fma_f32 v5, 0xbfc90fda, v6, |v0|
	v_cvt_i32_f32_e32 v7, v6
	v_fmamk_f32 v5, v6, 0xb3a22168, v5
	v_fmamk_f32 v5, v6, 0xa7c234c4, v5
.LBB15_27:
	s_or_b32 exec_lo, exec_lo, s4
	v_div_scale_f32 v6, null, v1, v1, 0xc0a00000
	v_div_scale_f32 v10, vcc_lo, 0xc0a00000, v1, 0xc0a00000
	v_mul_f32_e32 v12, v3, v3
	v_rcp_f32_e32 v8, v6
	s_mov_b32 s5, 0xb94c1982
	s_mov_b32 s6, 0x37d75334
	v_div_scale_f32 v13, null, v1, v1, 0x40a00000
	v_fmaak_f32 v15, s5, v12, 0x3c0881c4
	v_fmaak_f32 v16, s6, v12, 0xbab64f3b
	v_mul_f32_e32 v14, 0xcf800000, v1
	v_rcp_f32_e32 v17, v13
	v_xor_b32_e32 v2, v2, v0
	v_fma_f32 v9, -v6, v8, 1.0
	v_fmaak_f32 v15, v12, v15, 0xbe2aaa9d
	v_fmaak_f32 v16, v12, v16, 0x3d2aabf7
	v_fmac_f32_e32 v8, v9, v8
	v_mul_f32_e32 v15, v12, v15
	v_fmaak_f32 v16, v12, v16, 0xbf000004
	v_mul_f32_e32 v9, v10, v8
	v_fmac_f32_e32 v3, v3, v15
	v_fma_f32 v12, v12, v16, 1.0
	v_fma_f32 v11, -v6, v9, v10
	v_fmac_f32_e32 v9, v11, v8
	v_and_b32_e32 v11, 1, v4
	v_lshlrev_b32_e32 v4, 30, v4
	v_fma_f32 v6, -v6, v9, v10
	v_div_scale_f32 v10, s4, 0x40a00000, v1, 0x40a00000
	v_and_b32_e32 v4, 0x80000000, v4
	v_div_fmas_f32 v6, v6, v8, v9
	v_mul_f32_e32 v8, v5, v5
	v_and_b32_e32 v9, 1, v7
	v_lshlrev_b32_e32 v7, 30, v7
	v_div_fixup_f32 v6, v6, v1, 0xc0a00000
	v_fmaak_f32 v18, s5, v8, 0x3c0881c4
	v_fmaak_f32 v19, s6, v8, 0xbab64f3b
	v_cmp_lt_f32_e64 s5, 0x8f800000, v1
	v_cmp_eq_u32_e64 s6, 0, v11
	v_mul_f32_e32 v6, v6, v6
	v_fmaak_f32 v18, v8, v18, 0xbe2aaa9d
	v_fmaak_f32 v19, v8, v19, 0x3d2aabf7
	v_cndmask_b32_e64 v14, -v1, v14, s5
	v_cndmask_b32_e64 v3, -v3, v12, s6
	v_fmaak_f32 v20, 0, v6, 0x3a15c4d9
	v_fmaak_f32 v21, 0, v6, 0x3a47c962
	;; [unrolled: 1-line block ×4, first 2 shown]
	v_mul_f32_e32 v18, v8, v18
	v_fmaak_f32 v20, v6, v20, 0x3d8cfeeb
	v_fmaak_f32 v21, v6, v21, 0x3d95ca45
	;; [unrolled: 1-line block ×9, first 2 shown]
	v_fmac_f32_e32 v5, v5, v18
	v_fmaak_f32 v20, v6, v20, 0x40a25d18
	v_fmaak_f32 v21, v6, v21, 0x40a39628
	;; [unrolled: 1-line block ×4, first 2 shown]
	v_fma_f32 v8, v8, v19, 1.0
	v_fmaak_f32 v20, v6, v20, 0x410665cf
	v_fmaak_f32 v21, v6, v21, 0x4106c8e4
	;; [unrolled: 1-line block ×4, first 2 shown]
	v_cmp_eq_u32_e64 s7, 0, v9
	v_fmaak_f32 v20, v6, v20, 0x40a6b6ea
	v_fmaak_f32 v21, v6, v21, 0x40a6dd51
	;; [unrolled: 1-line block ×4, first 2 shown]
	v_sqrt_f32_e32 v24, v14
	v_fma_f32 v20, v6, v20, 1.0
	v_fma_f32 v21, v6, v21, 1.0
	v_fmaak_f32 v22, v6, v22, 0x4353b052
	v_fmaak_f32 v23, v6, v23, 0x43a80bfb
	v_cndmask_b32_e64 v5, v8, v5, s7
	v_cmp_class_f32_e64 s7, v0, 0x1f8
	v_div_scale_f32 v25, null, v20, v20, v21
	v_fmaak_f32 v6, v6, v22, 0x41c9a7fa
	v_fma_f32 v22, -v13, v17, 1.0
	v_add_nc_u32_e32 v18, -1, v24
	v_rcp_f32_e32 v26, v25
	v_xor_b32_e32 v3, v4, v3
	v_div_scale_f32 v27, null, v23, v23, v6
	v_fmac_f32_e32 v17, v22, v17
	v_div_scale_f32 v22, vcc_lo, v21, v20, v21
	v_rcp_f32_e32 v15, v27
	v_div_scale_f32 v11, s6, v6, v23, v6
	v_fma_f32 v16, -v25, v26, 1.0
	v_add_nc_u32_e32 v19, 1, v24
	v_fma_f32 v29, -v18, v24, v14
	v_and_b32_e32 v7, 0x80000000, v7
	v_cndmask_b32_e64 v3, 0x7fc00000, v3, s7
	v_fmac_f32_e32 v26, v16, v26
	v_fma_f32 v30, -v19, v24, v14
	v_fma_f32 v16, -v27, v15, 1.0
	v_xor3_b32 v2, v2, v7, v5
	v_mul_f32_e32 v12, v22, v26
	v_fmac_f32_e32 v15, v16, v15
	v_mul_f32_e32 v16, v10, v17
	v_cndmask_b32_e64 v2, 0x7fc00000, v2, s7
	v_fma_f32 v8, -v25, v12, v22
	v_mul_f32_e32 v9, v11, v15
	v_fma_f32 v28, -v13, v16, v10
	v_fmac_f32_e32 v12, v8, v26
	v_fma_f32 v8, -v27, v9, v11
	v_fmac_f32_e32 v16, v28, v17
	;; [unrolled: 2-line block ×3, first 2 shown]
	v_fma_f32 v4, -v13, v16, v10
	v_div_fmas_f32 v0, v0, v26, v12
	s_mov_b32 vcc_lo, s4
	v_fma_f32 v8, -v27, v9, v11
	v_div_fmas_f32 v4, v4, v17, v16
	s_mov_b32 vcc_lo, s6
	v_div_fixup_f32 v0, v0, v20, v21
	v_div_fmas_f32 v8, v8, v15, v9
	v_cmp_ge_f32_e32 vcc_lo, 0, v29
	v_div_fixup_f32 v1, v4, v1, 0x40a00000
	v_div_fixup_f32 v4, v8, v23, v6
	v_cndmask_b32_e32 v5, v24, v18, vcc_lo
	v_cmp_lt_f32_e32 vcc_lo, 0, v30
	v_mul_f32_e32 v1, v1, v4
	v_cndmask_b32_e32 v5, v5, v19, vcc_lo
	v_cmp_class_f32_e64 vcc_lo, v14, 0x260
	v_mul_f32_e32 v1, v1, v2
	v_mul_f32_e32 v4, 0x37800000, v5
	v_fmac_f32_e32 v1, v0, v3
	v_cndmask_b32_e64 v2, v5, v4, s5
	v_mul_f32_e32 v1, 0x3f4c422a, v1
	v_cndmask_b32_e32 v0, v2, v14, vcc_lo
	v_div_scale_f32 v2, null, v0, v0, v1
	v_rcp_f32_e32 v3, v2
	v_fma_f32 v4, -v2, v3, 1.0
	v_fmac_f32_e32 v3, v4, v3
	v_div_scale_f32 v4, vcc_lo, v1, v0, v1
	v_mul_f32_e32 v5, v4, v3
	v_fma_f32 v6, -v2, v5, v4
	v_fmac_f32_e32 v5, v6, v3
	v_fma_f32 v2, -v2, v5, v4
	v_div_fmas_f32 v2, v2, v3, v5
	v_div_fixup_f32 v0, v2, v0, v1
.LBB15_28:
	s_or_b32 exec_lo, exec_lo, s9
	v_xor_b32_e32 v0, 0x80000000, v0
	s_or_b32 exec_lo, exec_lo, s8
	s_setpc_b64 s[30:31]
.Lfunc_end15:
	.size	_ZN2at6native6invokeIZZZNS0_12_GLOBAL__N_121bessel_j1_kernel_cudaERNS_18TensorIteratorBaseEENKUlvE_clEvENKUlvE0_clEvEUlfE_j15function_traitsIS7_EEENT1_11result_typeERKT_PrKPcPKT0_i, .Lfunc_end15-_ZN2at6native6invokeIZZZNS0_12_GLOBAL__N_121bessel_j1_kernel_cudaERNS_18TensorIteratorBaseEENKUlvE_clEvENKUlvE0_clEvEUlfE_j15function_traitsIS7_EEENT1_11result_typeERKT_PrKPcPKT0_i
                                        ; -- End function
	.set .L_ZN2at6native6invokeIZZZNS0_12_GLOBAL__N_121bessel_j1_kernel_cudaERNS_18TensorIteratorBaseEENKUlvE_clEvENKUlvE0_clEvEUlfE_j15function_traitsIS7_EEENT1_11result_typeERKT_PrKPcPKT0_i.num_vgpr, 31
	.set .L_ZN2at6native6invokeIZZZNS0_12_GLOBAL__N_121bessel_j1_kernel_cudaERNS_18TensorIteratorBaseEENKUlvE_clEvENKUlvE0_clEvEUlfE_j15function_traitsIS7_EEENT1_11result_typeERKT_PrKPcPKT0_i.num_agpr, 0
	.set .L_ZN2at6native6invokeIZZZNS0_12_GLOBAL__N_121bessel_j1_kernel_cudaERNS_18TensorIteratorBaseEENKUlvE_clEvENKUlvE0_clEvEUlfE_j15function_traitsIS7_EEENT1_11result_typeERKT_PrKPcPKT0_i.numbered_sgpr, 32
	.set .L_ZN2at6native6invokeIZZZNS0_12_GLOBAL__N_121bessel_j1_kernel_cudaERNS_18TensorIteratorBaseEENKUlvE_clEvENKUlvE0_clEvEUlfE_j15function_traitsIS7_EEENT1_11result_typeERKT_PrKPcPKT0_i.num_named_barrier, 0
	.set .L_ZN2at6native6invokeIZZZNS0_12_GLOBAL__N_121bessel_j1_kernel_cudaERNS_18TensorIteratorBaseEENKUlvE_clEvENKUlvE0_clEvEUlfE_j15function_traitsIS7_EEENT1_11result_typeERKT_PrKPcPKT0_i.private_seg_size, 0
	.set .L_ZN2at6native6invokeIZZZNS0_12_GLOBAL__N_121bessel_j1_kernel_cudaERNS_18TensorIteratorBaseEENKUlvE_clEvENKUlvE0_clEvEUlfE_j15function_traitsIS7_EEENT1_11result_typeERKT_PrKPcPKT0_i.uses_vcc, 1
	.set .L_ZN2at6native6invokeIZZZNS0_12_GLOBAL__N_121bessel_j1_kernel_cudaERNS_18TensorIteratorBaseEENKUlvE_clEvENKUlvE0_clEvEUlfE_j15function_traitsIS7_EEENT1_11result_typeERKT_PrKPcPKT0_i.uses_flat_scratch, 0
	.set .L_ZN2at6native6invokeIZZZNS0_12_GLOBAL__N_121bessel_j1_kernel_cudaERNS_18TensorIteratorBaseEENKUlvE_clEvENKUlvE0_clEvEUlfE_j15function_traitsIS7_EEENT1_11result_typeERKT_PrKPcPKT0_i.has_dyn_sized_stack, 0
	.set .L_ZN2at6native6invokeIZZZNS0_12_GLOBAL__N_121bessel_j1_kernel_cudaERNS_18TensorIteratorBaseEENKUlvE_clEvENKUlvE0_clEvEUlfE_j15function_traitsIS7_EEENT1_11result_typeERKT_PrKPcPKT0_i.has_recursion, 0
	.set .L_ZN2at6native6invokeIZZZNS0_12_GLOBAL__N_121bessel_j1_kernel_cudaERNS_18TensorIteratorBaseEENKUlvE_clEvENKUlvE0_clEvEUlfE_j15function_traitsIS7_EEENT1_11result_typeERKT_PrKPcPKT0_i.has_indirect_call, 0
	.section	.AMDGPU.csdata,"",@progbits
; Function info:
; codeLenInByte = 5088
; TotalNumSgprs: 34
; NumVgprs: 31
; ScratchSize: 0
; MemoryBound: 0
	.section	.text._ZN2at6native32elementwise_kernel_manual_unrollILi128ELi4EZNS0_22gpu_kernel_impl_nocastIZZZNS0_12_GLOBAL__N_121bessel_j1_kernel_cudaERNS_18TensorIteratorBaseEENKUlvE_clEvENKUlvE0_clEvEUlfE_EEvS5_RKT_EUlibE_EEviT1_,"axG",@progbits,_ZN2at6native32elementwise_kernel_manual_unrollILi128ELi4EZNS0_22gpu_kernel_impl_nocastIZZZNS0_12_GLOBAL__N_121bessel_j1_kernel_cudaERNS_18TensorIteratorBaseEENKUlvE_clEvENKUlvE0_clEvEUlfE_EEvS5_RKT_EUlibE_EEviT1_,comdat
	.globl	_ZN2at6native32elementwise_kernel_manual_unrollILi128ELi4EZNS0_22gpu_kernel_impl_nocastIZZZNS0_12_GLOBAL__N_121bessel_j1_kernel_cudaERNS_18TensorIteratorBaseEENKUlvE_clEvENKUlvE0_clEvEUlfE_EEvS5_RKT_EUlibE_EEviT1_ ; -- Begin function _ZN2at6native32elementwise_kernel_manual_unrollILi128ELi4EZNS0_22gpu_kernel_impl_nocastIZZZNS0_12_GLOBAL__N_121bessel_j1_kernel_cudaERNS_18TensorIteratorBaseEENKUlvE_clEvENKUlvE0_clEvEUlfE_EEvS5_RKT_EUlibE_EEviT1_
	.p2align	8
	.type	_ZN2at6native32elementwise_kernel_manual_unrollILi128ELi4EZNS0_22gpu_kernel_impl_nocastIZZZNS0_12_GLOBAL__N_121bessel_j1_kernel_cudaERNS_18TensorIteratorBaseEENKUlvE_clEvENKUlvE0_clEvEUlfE_EEvS5_RKT_EUlibE_EEviT1_,@function
_ZN2at6native32elementwise_kernel_manual_unrollILi128ELi4EZNS0_22gpu_kernel_impl_nocastIZZZNS0_12_GLOBAL__N_121bessel_j1_kernel_cudaERNS_18TensorIteratorBaseEENKUlvE_clEvENKUlvE0_clEvEUlfE_EEvS5_RKT_EUlibE_EEviT1_: ; @_ZN2at6native32elementwise_kernel_manual_unrollILi128ELi4EZNS0_22gpu_kernel_impl_nocastIZZZNS0_12_GLOBAL__N_121bessel_j1_kernel_cudaERNS_18TensorIteratorBaseEENKUlvE_clEvENKUlvE0_clEvEUlfE_EEvS5_RKT_EUlibE_EEviT1_
; %bb.0:
	s_clause 0x1
	s_load_dword s28, s[4:5], 0x8
	s_load_dword s36, s[4:5], 0x0
	v_lshl_or_b32 v33, s6, 9, v0
	s_add_u32 s0, s0, s7
	s_addc_u32 s1, s1, 0
	s_add_u32 s10, s4, 8
	s_addc_u32 s11, s5, 0
	v_or_b32_e32 v0, 0x180, v33
	s_mov_b32 s32, 0
	s_mov_b32 s4, exec_lo
	s_waitcnt lgkmcnt(0)
	s_add_i32 s29, s28, -1
	s_cmp_gt_u32 s29, 1
	s_cselect_b32 s33, -1, 0
	v_cmpx_le_i32_e64 s36, v0
	s_xor_b32 s34, exec_lo, s4
	s_cbranch_execz .LBB16_7
; %bb.1:
	s_clause 0x3
	s_load_dwordx4 s[20:23], s[10:11], 0x4
	s_load_dwordx2 s[24:25], s[10:11], 0x14
	s_load_dwordx4 s[16:19], s[10:11], 0xc4
	s_load_dwordx4 s[12:15], s[10:11], 0x148
	s_cmp_lg_u32 s28, 0
	s_mov_b32 s39, exec_lo
	s_cselect_b32 s38, -1, 0
	s_add_u32 s26, s10, 0xc4
	s_addc_u32 s27, s11, 0
	s_min_u32 s37, s29, 15
	s_cmp_gt_u32 s28, 1
	s_cselect_b32 s35, -1, 0
	v_cmpx_gt_i32_e64 s36, v33
	s_cbranch_execz .LBB16_14
; %bb.2:
	s_andn2_b32 vcc_lo, exec_lo, s33
	s_cbranch_vccnz .LBB16_21
; %bb.3:
	s_andn2_b32 vcc_lo, exec_lo, s38
	s_cbranch_vccnz .LBB16_73
; %bb.4:
	s_add_i32 s9, s37, 1
	s_cmp_eq_u32 s29, 2
	s_cbranch_scc1 .LBB16_75
; %bb.5:
	v_mov_b32_e32 v2, 0
	v_mov_b32_e32 v31, 0
	;; [unrolled: 1-line block ×3, first 2 shown]
	s_and_b32 s8, s9, 28
	s_mov_b32 s30, 0
	s_mov_b64 s[4:5], s[10:11]
	s_mov_b64 s[6:7], s[26:27]
.LBB16_6:                               ; =>This Inner Loop Header: Depth=1
	s_clause 0x1
	s_load_dwordx8 s[40:47], s[4:5], 0x4
	s_load_dwordx4 s[56:59], s[4:5], 0x24
	s_load_dwordx8 s[48:55], s[6:7], 0x0
	s_add_u32 s4, s4, 48
	s_addc_u32 s5, s5, 0
	s_add_i32 s30, s30, 4
	s_add_u32 s6, s6, 32
	s_addc_u32 s7, s7, 0
	s_cmp_lg_u32 s8, s30
	s_waitcnt lgkmcnt(0)
	v_mul_hi_u32 v1, s41, v0
	v_add_nc_u32_e32 v1, v0, v1
	v_lshrrev_b32_e32 v1, s42, v1
	v_mul_hi_u32 v3, s44, v1
	v_mul_lo_u32 v5, v1, s40
	v_add_nc_u32_e32 v3, v1, v3
	v_sub_nc_u32_e32 v0, v0, v5
	v_lshrrev_b32_e32 v3, s45, v3
	v_mul_lo_u32 v5, v0, s48
	v_mul_lo_u32 v7, v0, s49
	v_mul_hi_u32 v4, s47, v3
	v_add_nc_u32_e32 v4, v3, v4
	v_lshrrev_b32_e32 v4, s56, v4
	v_mul_hi_u32 v6, s58, v4
	v_mul_lo_u32 v8, v4, s46
	v_add_nc_u32_e32 v0, v4, v6
	v_mul_lo_u32 v6, v3, s43
	v_sub_nc_u32_e32 v3, v3, v8
	v_lshrrev_b32_e32 v0, s59, v0
	v_mul_lo_u32 v8, v3, s52
	v_mul_lo_u32 v3, v3, s53
	v_sub_nc_u32_e32 v1, v1, v6
	v_mul_lo_u32 v9, v0, s57
	v_mul_lo_u32 v6, v1, s50
	;; [unrolled: 1-line block ×3, first 2 shown]
	v_sub_nc_u32_e32 v4, v4, v9
	v_add3_u32 v5, v5, v31, v6
	v_mul_lo_u32 v9, v4, s54
	v_mul_lo_u32 v4, v4, s55
	v_add3_u32 v1, v7, v2, v1
	v_add3_u32 v31, v8, v5, v9
	;; [unrolled: 1-line block ×3, first 2 shown]
	s_cbranch_scc1 .LBB16_6
	s_branch .LBB16_76
.LBB16_7:
	s_andn2_saveexec_b32 s4, s34
	s_cbranch_execz .LBB16_101
.LBB16_8:
	v_cndmask_b32_e64 v1, 0, 1, s33
	s_andn2_b32 vcc_lo, exec_lo, s33
	s_cbranch_vccnz .LBB16_20
; %bb.9:
	s_cmp_lg_u32 s28, 0
	s_mov_b32 s8, 0
	s_cbranch_scc0 .LBB16_23
; %bb.10:
	s_waitcnt lgkmcnt(0)
	s_min_u32 s12, s29, 15
	s_add_i32 s12, s12, 1
	s_cmp_eq_u32 s29, 2
	s_cbranch_scc1 .LBB16_24
; %bb.11:
	v_mov_b32_e32 v2, 0
	v_mov_b32_e32 v35, 0
	;; [unrolled: 1-line block ×3, first 2 shown]
	s_and_b32 s9, s12, 28
	s_add_u32 s4, s10, 0xc4
	s_addc_u32 s5, s11, 0
	s_mov_b32 s13, 0
	s_mov_b64 s[6:7], s[10:11]
.LBB16_12:                              ; =>This Inner Loop Header: Depth=1
	s_clause 0x1
	s_load_dwordx8 s[16:23], s[6:7], 0x4
	s_load_dwordx4 s[24:27], s[6:7], 0x24
	s_load_dwordx8 s[36:43], s[4:5], 0x0
	s_add_u32 s6, s6, 48
	s_addc_u32 s7, s7, 0
	s_add_i32 s13, s13, 4
	s_add_u32 s4, s4, 32
	s_addc_u32 s5, s5, 0
	s_cmp_lg_u32 s9, s13
	s_waitcnt lgkmcnt(0)
	v_mul_hi_u32 v4, s17, v3
	v_add_nc_u32_e32 v4, v3, v4
	v_lshrrev_b32_e32 v4, s18, v4
	v_mul_hi_u32 v5, s20, v4
	v_mul_lo_u32 v7, v4, s16
	v_add_nc_u32_e32 v5, v4, v5
	v_sub_nc_u32_e32 v3, v3, v7
	v_lshrrev_b32_e32 v5, s21, v5
	v_mul_lo_u32 v7, v3, s36
	v_mul_lo_u32 v9, v3, s37
	v_mul_hi_u32 v6, s23, v5
	v_add_nc_u32_e32 v6, v5, v6
	v_lshrrev_b32_e32 v6, s24, v6
	v_mul_hi_u32 v8, s26, v6
	v_mul_lo_u32 v10, v6, s22
	v_add_nc_u32_e32 v3, v6, v8
	v_mul_lo_u32 v8, v5, s19
	v_sub_nc_u32_e32 v5, v5, v10
	v_lshrrev_b32_e32 v3, s27, v3
	v_mul_lo_u32 v10, v5, s40
	v_mul_lo_u32 v5, v5, s41
	v_sub_nc_u32_e32 v4, v4, v8
	v_mul_lo_u32 v11, v3, s25
	v_mul_lo_u32 v8, v4, s38
	;; [unrolled: 1-line block ×3, first 2 shown]
	v_sub_nc_u32_e32 v6, v6, v11
	v_add3_u32 v7, v7, v35, v8
	v_mul_lo_u32 v11, v6, s42
	v_mul_lo_u32 v6, v6, s43
	v_add3_u32 v2, v9, v2, v4
	v_add3_u32 v35, v10, v7, v11
	;; [unrolled: 1-line block ×3, first 2 shown]
	s_cbranch_scc1 .LBB16_12
; %bb.13:
	s_and_b32 s12, s12, 3
	s_cmp_eq_u32 s12, 0
	s_cbranch_scc0 .LBB16_25
	s_branch .LBB16_27
.LBB16_14:
	s_or_b32 exec_lo, exec_lo, s39
	s_mov_b32 s39, exec_lo
	v_cmpx_gt_i32_e64 s36, v33
	s_cbranch_execz .LBB16_83
.LBB16_15:
	s_andn2_b32 vcc_lo, exec_lo, s33
	s_cbranch_vccnz .LBB16_22
; %bb.16:
	s_andn2_b32 vcc_lo, exec_lo, s38
	s_cbranch_vccnz .LBB16_74
; %bb.17:
	s_add_i32 s9, s37, 1
	s_cmp_eq_u32 s29, 2
	s_cbranch_scc1 .LBB16_91
; %bb.18:
	v_mov_b32_e32 v2, 0
	v_mov_b32_e32 v31, 0
	v_mov_b32_e32 v0, v33
	s_and_b32 s8, s9, 28
	s_mov_b32 s30, 0
	s_mov_b64 s[4:5], s[10:11]
	s_mov_b64 s[6:7], s[26:27]
.LBB16_19:                              ; =>This Inner Loop Header: Depth=1
	s_clause 0x1
	s_load_dwordx8 s[40:47], s[4:5], 0x4
	s_load_dwordx4 s[56:59], s[4:5], 0x24
	s_load_dwordx8 s[48:55], s[6:7], 0x0
	s_add_u32 s4, s4, 48
	s_addc_u32 s5, s5, 0
	s_add_i32 s30, s30, 4
	s_add_u32 s6, s6, 32
	s_addc_u32 s7, s7, 0
	s_cmp_eq_u32 s8, s30
	s_waitcnt lgkmcnt(0)
	v_mul_hi_u32 v1, s41, v0
	v_add_nc_u32_e32 v1, v0, v1
	v_lshrrev_b32_e32 v1, s42, v1
	v_mul_hi_u32 v3, s44, v1
	v_mul_lo_u32 v5, v1, s40
	v_add_nc_u32_e32 v3, v1, v3
	v_sub_nc_u32_e32 v0, v0, v5
	v_lshrrev_b32_e32 v3, s45, v3
	v_mul_lo_u32 v5, v0, s48
	v_mul_lo_u32 v7, v0, s49
	v_mul_hi_u32 v4, s47, v3
	v_add_nc_u32_e32 v4, v3, v4
	v_lshrrev_b32_e32 v4, s56, v4
	v_mul_hi_u32 v6, s58, v4
	v_mul_lo_u32 v8, v4, s46
	v_add_nc_u32_e32 v0, v4, v6
	v_mul_lo_u32 v6, v3, s43
	v_sub_nc_u32_e32 v3, v3, v8
	v_lshrrev_b32_e32 v0, s59, v0
	v_mul_lo_u32 v8, v3, s52
	v_mul_lo_u32 v3, v3, s53
	v_sub_nc_u32_e32 v1, v1, v6
	v_mul_lo_u32 v9, v0, s57
	v_mul_lo_u32 v6, v1, s50
	;; [unrolled: 1-line block ×3, first 2 shown]
	v_sub_nc_u32_e32 v4, v4, v9
	v_add3_u32 v5, v5, v31, v6
	v_mul_lo_u32 v9, v4, s54
	v_mul_lo_u32 v4, v4, s55
	v_add3_u32 v1, v7, v2, v1
	v_add3_u32 v31, v8, v5, v9
	;; [unrolled: 1-line block ×3, first 2 shown]
	s_cbranch_scc0 .LBB16_19
	s_branch .LBB16_92
.LBB16_20:
	s_mov_b32 s8, -1
                                        ; implicit-def: $vgpr35
                                        ; implicit-def: $vgpr2
	s_branch .LBB16_27
.LBB16_21:
                                        ; implicit-def: $vgpr31
                                        ; implicit-def: $vgpr2
	s_branch .LBB16_80
.LBB16_22:
                                        ; implicit-def: $vgpr31
                                        ; implicit-def: $vgpr2
	s_branch .LBB16_96
.LBB16_23:
	v_mov_b32_e32 v35, 0
	v_mov_b32_e32 v2, 0
	s_branch .LBB16_27
.LBB16_24:
	v_mov_b32_e32 v35, 0
	v_mov_b32_e32 v2, 0
	;; [unrolled: 1-line block ×3, first 2 shown]
	s_mov_b32 s9, 0
	s_and_b32 s12, s12, 3
	s_cmp_eq_u32 s12, 0
	s_cbranch_scc1 .LBB16_27
.LBB16_25:
	s_lshl_b32 s4, s9, 3
	s_mul_i32 s6, s9, 12
	s_add_u32 s4, s10, s4
	s_addc_u32 s5, s11, 0
	s_add_u32 s4, s4, 0xc4
	s_addc_u32 s5, s5, 0
	;; [unrolled: 2-line block ×3, first 2 shown]
	.p2align	6
.LBB16_26:                              ; =>This Inner Loop Header: Depth=1
	s_clause 0x1
	s_load_dwordx2 s[14:15], s[6:7], 0x4
	s_load_dword s9, s[6:7], 0xc
	s_load_dwordx2 s[16:17], s[4:5], 0x0
	s_add_u32 s6, s6, 12
	s_addc_u32 s7, s7, 0
	s_add_u32 s4, s4, 8
	s_addc_u32 s5, s5, 0
	s_add_i32 s12, s12, -1
	s_cmp_lg_u32 s12, 0
	s_waitcnt lgkmcnt(0)
	v_mul_hi_u32 v4, s15, v3
	v_add_nc_u32_e32 v4, v3, v4
	v_lshrrev_b32_e32 v4, s9, v4
	v_mul_lo_u32 v5, v4, s14
	v_sub_nc_u32_e32 v3, v3, v5
	v_mad_u64_u32 v[35:36], null, v3, s16, v[35:36]
	v_mad_u64_u32 v[2:3], null, v3, s17, v[2:3]
	v_mov_b32_e32 v3, v4
	s_cbranch_scc1 .LBB16_26
.LBB16_27:
	s_andn2_b32 vcc_lo, exec_lo, s8
	s_cbranch_vccnz .LBB16_30
; %bb.28:
	s_clause 0x1
	s_load_dwordx4 s[4:7], s[10:11], 0x4
	s_load_dwordx2 s[8:9], s[10:11], 0xc4
	s_cmp_lt_u32 s28, 2
	s_waitcnt lgkmcnt(0)
	v_mul_hi_u32 v2, s5, v33
	v_add_nc_u32_e32 v2, v33, v2
	v_lshrrev_b32_e32 v3, s6, v2
	v_mul_lo_u32 v2, v3, s4
	v_sub_nc_u32_e32 v2, v33, v2
	v_mul_lo_u32 v35, v2, s8
	v_mul_lo_u32 v2, v2, s9
	s_cbranch_scc1 .LBB16_30
; %bb.29:
	s_clause 0x1
	s_load_dwordx4 s[4:7], s[10:11], 0x10
	s_load_dwordx2 s[8:9], s[10:11], 0xcc
	s_waitcnt lgkmcnt(0)
	v_mul_hi_u32 v4, s5, v3
	v_add_nc_u32_e32 v4, v3, v4
	v_lshrrev_b32_e32 v4, s6, v4
	v_mul_lo_u32 v4, v4, s4
	v_sub_nc_u32_e32 v3, v3, v4
	v_mad_u64_u32 v[35:36], null, v3, s8, v[35:36]
	v_mad_u64_u32 v[2:3], null, v3, s9, v[2:3]
.LBB16_30:
	v_cmp_ne_u32_e32 vcc_lo, 1, v1
	v_add_nc_u32_e32 v3, 0x80, v33
	s_cbranch_vccnz .LBB16_36
; %bb.31:
	s_cmp_lg_u32 s28, 0
	s_mov_b32 s8, 0
	s_cbranch_scc0 .LBB16_37
; %bb.32:
	s_waitcnt lgkmcnt(0)
	s_min_u32 s12, s29, 15
	s_add_i32 s12, s12, 1
	s_cmp_eq_u32 s29, 2
	s_cbranch_scc1 .LBB16_38
; %bb.33:
	v_mov_b32_e32 v31, 0
	v_mov_b32_e32 v36, 0
	;; [unrolled: 1-line block ×3, first 2 shown]
	s_and_b32 s9, s12, 28
	s_add_u32 s4, s10, 0xc4
	s_addc_u32 s5, s11, 0
	s_mov_b32 s13, 0
	s_mov_b64 s[6:7], s[10:11]
.LBB16_34:                              ; =>This Inner Loop Header: Depth=1
	s_clause 0x1
	s_load_dwordx8 s[16:23], s[6:7], 0x4
	s_load_dwordx4 s[24:27], s[6:7], 0x24
	s_load_dwordx8 s[36:43], s[4:5], 0x0
	s_add_u32 s6, s6, 48
	s_addc_u32 s7, s7, 0
	s_add_i32 s13, s13, 4
	s_add_u32 s4, s4, 32
	s_addc_u32 s5, s5, 0
	s_cmp_lg_u32 s9, s13
	s_waitcnt lgkmcnt(0)
	v_mul_hi_u32 v5, s17, v4
	v_add_nc_u32_e32 v5, v4, v5
	v_lshrrev_b32_e32 v5, s18, v5
	v_mul_hi_u32 v6, s20, v5
	v_mul_lo_u32 v8, v5, s16
	v_add_nc_u32_e32 v6, v5, v6
	v_sub_nc_u32_e32 v4, v4, v8
	v_lshrrev_b32_e32 v6, s21, v6
	v_mul_lo_u32 v8, v4, s36
	v_mul_lo_u32 v10, v4, s37
	v_mul_hi_u32 v7, s23, v6
	v_add_nc_u32_e32 v7, v6, v7
	v_lshrrev_b32_e32 v7, s24, v7
	v_mul_hi_u32 v9, s26, v7
	v_mul_lo_u32 v11, v7, s22
	v_add_nc_u32_e32 v4, v7, v9
	v_mul_lo_u32 v9, v6, s19
	v_sub_nc_u32_e32 v6, v6, v11
	v_lshrrev_b32_e32 v4, s27, v4
	v_mul_lo_u32 v11, v6, s40
	v_mul_lo_u32 v6, v6, s41
	v_sub_nc_u32_e32 v5, v5, v9
	v_mul_lo_u32 v12, v4, s25
	v_mul_lo_u32 v9, v5, s38
	;; [unrolled: 1-line block ×3, first 2 shown]
	v_sub_nc_u32_e32 v7, v7, v12
	v_add3_u32 v8, v8, v36, v9
	v_mul_lo_u32 v12, v7, s42
	v_mul_lo_u32 v7, v7, s43
	v_add3_u32 v5, v10, v31, v5
	v_add3_u32 v36, v11, v8, v12
	;; [unrolled: 1-line block ×3, first 2 shown]
	s_cbranch_scc1 .LBB16_34
; %bb.35:
	s_and_b32 s12, s12, 3
	s_cmp_eq_u32 s12, 0
	s_cbranch_scc0 .LBB16_39
	s_branch .LBB16_41
.LBB16_36:
	s_mov_b32 s8, -1
                                        ; implicit-def: $vgpr36
                                        ; implicit-def: $vgpr31
	s_branch .LBB16_41
.LBB16_37:
	v_mov_b32_e32 v36, 0
	v_mov_b32_e32 v31, 0
	s_branch .LBB16_41
.LBB16_38:
	v_mov_b32_e32 v36, 0
	v_mov_b32_e32 v31, 0
	;; [unrolled: 1-line block ×3, first 2 shown]
	s_mov_b32 s9, 0
	s_and_b32 s12, s12, 3
	s_cmp_eq_u32 s12, 0
	s_cbranch_scc1 .LBB16_41
.LBB16_39:
	s_lshl_b32 s4, s9, 3
	s_mul_i32 s6, s9, 12
	s_add_u32 s4, s10, s4
	s_addc_u32 s5, s11, 0
	s_add_u32 s4, s4, 0xc4
	s_addc_u32 s5, s5, 0
	;; [unrolled: 2-line block ×3, first 2 shown]
	.p2align	6
.LBB16_40:                              ; =>This Inner Loop Header: Depth=1
	s_clause 0x1
	s_load_dwordx2 s[14:15], s[6:7], 0x4
	s_load_dword s9, s[6:7], 0xc
	s_load_dwordx2 s[16:17], s[4:5], 0x0
	s_add_u32 s6, s6, 12
	s_addc_u32 s7, s7, 0
	s_add_u32 s4, s4, 8
	s_addc_u32 s5, s5, 0
	s_add_i32 s12, s12, -1
	s_cmp_lg_u32 s12, 0
	s_waitcnt lgkmcnt(0)
	v_mul_hi_u32 v5, s15, v4
	v_add_nc_u32_e32 v5, v4, v5
	v_lshrrev_b32_e32 v5, s9, v5
	v_mul_lo_u32 v6, v5, s14
	v_sub_nc_u32_e32 v4, v4, v6
	v_mad_u64_u32 v[36:37], null, v4, s16, v[36:37]
	v_mad_u64_u32 v[31:32], null, v4, s17, v[31:32]
	v_mov_b32_e32 v4, v5
	s_cbranch_scc1 .LBB16_40
.LBB16_41:
	s_andn2_b32 vcc_lo, exec_lo, s8
	s_cbranch_vccnz .LBB16_44
; %bb.42:
	s_clause 0x1
	s_load_dwordx4 s[4:7], s[10:11], 0x4
	s_load_dwordx2 s[8:9], s[10:11], 0xc4
	s_cmp_lt_u32 s28, 2
	s_waitcnt lgkmcnt(0)
	v_mul_hi_u32 v4, s5, v3
	v_add_nc_u32_e32 v4, v3, v4
	v_lshrrev_b32_e32 v4, s6, v4
	v_mul_lo_u32 v5, v4, s4
	v_sub_nc_u32_e32 v3, v3, v5
	v_mul_lo_u32 v36, v3, s8
	v_mul_lo_u32 v31, v3, s9
	s_cbranch_scc1 .LBB16_44
; %bb.43:
	s_clause 0x1
	s_load_dwordx4 s[4:7], s[10:11], 0x10
	s_load_dwordx2 s[8:9], s[10:11], 0xcc
	s_waitcnt lgkmcnt(0)
	v_mul_hi_u32 v3, s5, v4
	v_add_nc_u32_e32 v3, v4, v3
	v_lshrrev_b32_e32 v3, s6, v3
	v_mul_lo_u32 v3, v3, s4
	v_sub_nc_u32_e32 v3, v4, v3
	v_mad_u64_u32 v[36:37], null, v3, s8, v[36:37]
	v_mad_u64_u32 v[31:32], null, v3, s9, v[31:32]
.LBB16_44:
	v_cmp_ne_u32_e32 vcc_lo, 1, v1
	v_add_nc_u32_e32 v3, 0x100, v33
	s_cbranch_vccnz .LBB16_50
; %bb.45:
	s_cmp_lg_u32 s28, 0
	s_mov_b32 s8, 0
	s_cbranch_scc0 .LBB16_51
; %bb.46:
	s_waitcnt lgkmcnt(0)
	s_min_u32 s12, s29, 15
	s_add_i32 s12, s12, 1
	s_cmp_eq_u32 s29, 2
	s_cbranch_scc1 .LBB16_52
; %bb.47:
	v_mov_b32_e32 v32, 0
	v_mov_b32_e32 v37, 0
	v_mov_b32_e32 v4, v3
	s_and_b32 s9, s12, 28
	s_add_u32 s4, s10, 0xc4
	s_addc_u32 s5, s11, 0
	s_mov_b32 s13, 0
	s_mov_b64 s[6:7], s[10:11]
.LBB16_48:                              ; =>This Inner Loop Header: Depth=1
	s_clause 0x1
	s_load_dwordx8 s[16:23], s[6:7], 0x4
	s_load_dwordx4 s[24:27], s[6:7], 0x24
	s_load_dwordx8 s[36:43], s[4:5], 0x0
	s_add_u32 s6, s6, 48
	s_addc_u32 s7, s7, 0
	s_add_i32 s13, s13, 4
	s_add_u32 s4, s4, 32
	s_addc_u32 s5, s5, 0
	s_cmp_lg_u32 s9, s13
	s_waitcnt lgkmcnt(0)
	v_mul_hi_u32 v5, s17, v4
	v_add_nc_u32_e32 v5, v4, v5
	v_lshrrev_b32_e32 v5, s18, v5
	v_mul_hi_u32 v6, s20, v5
	v_mul_lo_u32 v8, v5, s16
	v_add_nc_u32_e32 v6, v5, v6
	v_sub_nc_u32_e32 v4, v4, v8
	v_lshrrev_b32_e32 v6, s21, v6
	v_mul_lo_u32 v8, v4, s36
	v_mul_lo_u32 v10, v4, s37
	v_mul_hi_u32 v7, s23, v6
	v_add_nc_u32_e32 v7, v6, v7
	v_lshrrev_b32_e32 v7, s24, v7
	v_mul_hi_u32 v9, s26, v7
	v_mul_lo_u32 v11, v7, s22
	v_add_nc_u32_e32 v4, v7, v9
	v_mul_lo_u32 v9, v6, s19
	v_sub_nc_u32_e32 v6, v6, v11
	v_lshrrev_b32_e32 v4, s27, v4
	v_mul_lo_u32 v11, v6, s40
	v_mul_lo_u32 v6, v6, s41
	v_sub_nc_u32_e32 v5, v5, v9
	v_mul_lo_u32 v12, v4, s25
	v_mul_lo_u32 v9, v5, s38
	;; [unrolled: 1-line block ×3, first 2 shown]
	v_sub_nc_u32_e32 v7, v7, v12
	v_add3_u32 v8, v8, v37, v9
	v_mul_lo_u32 v12, v7, s42
	v_mul_lo_u32 v7, v7, s43
	v_add3_u32 v5, v10, v32, v5
	v_add3_u32 v37, v11, v8, v12
	;; [unrolled: 1-line block ×3, first 2 shown]
	s_cbranch_scc1 .LBB16_48
; %bb.49:
	s_and_b32 s12, s12, 3
	s_cmp_eq_u32 s12, 0
	s_cbranch_scc0 .LBB16_53
	s_branch .LBB16_55
.LBB16_50:
	s_mov_b32 s8, -1
                                        ; implicit-def: $vgpr37
                                        ; implicit-def: $vgpr32
	s_branch .LBB16_55
.LBB16_51:
	v_mov_b32_e32 v37, 0
	v_mov_b32_e32 v32, 0
	s_branch .LBB16_55
.LBB16_52:
	v_mov_b32_e32 v37, 0
	v_mov_b32_e32 v32, 0
	;; [unrolled: 1-line block ×3, first 2 shown]
	s_mov_b32 s9, 0
	s_and_b32 s12, s12, 3
	s_cmp_eq_u32 s12, 0
	s_cbranch_scc1 .LBB16_55
.LBB16_53:
	s_lshl_b32 s4, s9, 3
	s_mul_i32 s6, s9, 12
	s_add_u32 s4, s10, s4
	s_addc_u32 s5, s11, 0
	s_add_u32 s4, s4, 0xc4
	s_addc_u32 s5, s5, 0
	;; [unrolled: 2-line block ×3, first 2 shown]
	.p2align	6
.LBB16_54:                              ; =>This Inner Loop Header: Depth=1
	s_clause 0x1
	s_load_dwordx2 s[14:15], s[6:7], 0x4
	s_load_dword s9, s[6:7], 0xc
	s_load_dwordx2 s[16:17], s[4:5], 0x0
	s_add_u32 s6, s6, 12
	s_addc_u32 s7, s7, 0
	s_add_u32 s4, s4, 8
	s_addc_u32 s5, s5, 0
	s_add_i32 s12, s12, -1
	s_cmp_lg_u32 s12, 0
	s_waitcnt lgkmcnt(0)
	v_mul_hi_u32 v5, s15, v4
	v_add_nc_u32_e32 v5, v4, v5
	v_lshrrev_b32_e32 v5, s9, v5
	v_mul_lo_u32 v6, v5, s14
	v_sub_nc_u32_e32 v4, v4, v6
	v_mad_u64_u32 v[37:38], null, v4, s16, v[37:38]
	v_mad_u64_u32 v[32:33], null, v4, s17, v[32:33]
	v_mov_b32_e32 v4, v5
	s_cbranch_scc1 .LBB16_54
.LBB16_55:
	s_andn2_b32 vcc_lo, exec_lo, s8
	s_cbranch_vccnz .LBB16_58
; %bb.56:
	s_clause 0x1
	s_load_dwordx4 s[4:7], s[10:11], 0x4
	s_load_dwordx2 s[8:9], s[10:11], 0xc4
	s_cmp_lt_u32 s28, 2
	s_waitcnt lgkmcnt(0)
	v_mul_hi_u32 v4, s5, v3
	v_add_nc_u32_e32 v4, v3, v4
	v_lshrrev_b32_e32 v4, s6, v4
	v_mul_lo_u32 v5, v4, s4
	v_sub_nc_u32_e32 v3, v3, v5
	v_mul_lo_u32 v37, v3, s8
	v_mul_lo_u32 v32, v3, s9
	s_cbranch_scc1 .LBB16_58
; %bb.57:
	s_clause 0x1
	s_load_dwordx4 s[4:7], s[10:11], 0x10
	s_load_dwordx2 s[8:9], s[10:11], 0xcc
	s_waitcnt lgkmcnt(0)
	v_mul_hi_u32 v3, s5, v4
	v_add_nc_u32_e32 v3, v4, v3
	v_lshrrev_b32_e32 v3, s6, v3
	v_mul_lo_u32 v3, v3, s4
	v_sub_nc_u32_e32 v3, v4, v3
	v_mad_u64_u32 v[37:38], null, v3, s8, v[37:38]
	v_mad_u64_u32 v[32:33], null, v3, s9, v[32:33]
.LBB16_58:
	v_cmp_ne_u32_e32 vcc_lo, 1, v1
	s_cbranch_vccnz .LBB16_64
; %bb.59:
	s_cmp_lg_u32 s28, 0
	s_mov_b32 s8, 0
	s_cbranch_scc0 .LBB16_65
; %bb.60:
	s_waitcnt lgkmcnt(0)
	s_min_u32 s12, s29, 15
	s_add_i32 s12, s12, 1
	s_cmp_eq_u32 s29, 2
	s_cbranch_scc1 .LBB16_66
; %bb.61:
	v_mov_b32_e32 v33, 0
	v_mov_b32_e32 v38, 0
	;; [unrolled: 1-line block ×3, first 2 shown]
	s_and_b32 s9, s12, 28
	s_add_u32 s4, s10, 0xc4
	s_addc_u32 s5, s11, 0
	s_mov_b32 s13, 0
	s_mov_b64 s[6:7], s[10:11]
.LBB16_62:                              ; =>This Inner Loop Header: Depth=1
	s_clause 0x1
	s_load_dwordx8 s[16:23], s[6:7], 0x4
	s_load_dwordx4 s[24:27], s[6:7], 0x24
	s_load_dwordx8 s[36:43], s[4:5], 0x0
	s_add_u32 s6, s6, 48
	s_addc_u32 s7, s7, 0
	s_add_i32 s13, s13, 4
	s_add_u32 s4, s4, 32
	s_addc_u32 s5, s5, 0
	s_cmp_lg_u32 s9, s13
	s_waitcnt lgkmcnt(0)
	v_mul_hi_u32 v3, s17, v1
	v_add_nc_u32_e32 v3, v1, v3
	v_lshrrev_b32_e32 v3, s18, v3
	v_mul_hi_u32 v4, s20, v3
	v_mul_lo_u32 v6, v3, s16
	v_add_nc_u32_e32 v4, v3, v4
	v_sub_nc_u32_e32 v1, v1, v6
	v_lshrrev_b32_e32 v4, s21, v4
	v_mul_lo_u32 v6, v1, s36
	v_mul_lo_u32 v8, v1, s37
	v_mul_hi_u32 v5, s23, v4
	v_add_nc_u32_e32 v5, v4, v5
	v_lshrrev_b32_e32 v5, s24, v5
	v_mul_hi_u32 v7, s26, v5
	v_mul_lo_u32 v9, v5, s22
	v_add_nc_u32_e32 v1, v5, v7
	v_mul_lo_u32 v7, v4, s19
	v_sub_nc_u32_e32 v4, v4, v9
	v_lshrrev_b32_e32 v1, s27, v1
	v_mul_lo_u32 v9, v4, s40
	v_mul_lo_u32 v4, v4, s41
	v_sub_nc_u32_e32 v3, v3, v7
	v_mul_lo_u32 v10, v1, s25
	v_mul_lo_u32 v7, v3, s38
	;; [unrolled: 1-line block ×3, first 2 shown]
	v_sub_nc_u32_e32 v5, v5, v10
	v_add3_u32 v6, v6, v38, v7
	v_mul_lo_u32 v10, v5, s42
	v_mul_lo_u32 v5, v5, s43
	v_add3_u32 v3, v8, v33, v3
	v_add3_u32 v38, v9, v6, v10
	;; [unrolled: 1-line block ×3, first 2 shown]
	s_cbranch_scc1 .LBB16_62
; %bb.63:
	s_and_b32 s12, s12, 3
	s_cmp_eq_u32 s12, 0
	s_cbranch_scc0 .LBB16_67
	s_branch .LBB16_69
.LBB16_64:
	s_mov_b32 s8, -1
                                        ; implicit-def: $vgpr38
                                        ; implicit-def: $vgpr33
	s_branch .LBB16_69
.LBB16_65:
	v_mov_b32_e32 v38, 0
	v_mov_b32_e32 v33, 0
	s_branch .LBB16_69
.LBB16_66:
	v_mov_b32_e32 v38, 0
	v_mov_b32_e32 v33, 0
	;; [unrolled: 1-line block ×3, first 2 shown]
	s_mov_b32 s9, 0
	s_and_b32 s12, s12, 3
	s_cmp_eq_u32 s12, 0
	s_cbranch_scc1 .LBB16_69
.LBB16_67:
	s_lshl_b32 s4, s9, 3
	s_mul_i32 s6, s9, 12
	s_add_u32 s4, s10, s4
	s_addc_u32 s5, s11, 0
	s_add_u32 s4, s4, 0xc4
	s_addc_u32 s5, s5, 0
	;; [unrolled: 2-line block ×3, first 2 shown]
	.p2align	6
.LBB16_68:                              ; =>This Inner Loop Header: Depth=1
	s_clause 0x1
	s_load_dwordx2 s[14:15], s[6:7], 0x4
	s_load_dword s9, s[6:7], 0xc
	s_load_dwordx2 s[16:17], s[4:5], 0x0
	s_add_u32 s6, s6, 12
	s_addc_u32 s7, s7, 0
	s_add_u32 s4, s4, 8
	s_addc_u32 s5, s5, 0
	s_add_i32 s12, s12, -1
	s_cmp_lg_u32 s12, 0
	s_waitcnt lgkmcnt(0)
	v_mul_hi_u32 v3, s15, v1
	v_add_nc_u32_e32 v3, v1, v3
	v_lshrrev_b32_e32 v3, s9, v3
	v_mul_lo_u32 v4, v3, s14
	v_sub_nc_u32_e32 v1, v1, v4
	v_mad_u64_u32 v[38:39], null, v1, s16, v[38:39]
	v_mad_u64_u32 v[33:34], null, v1, s17, v[33:34]
	v_mov_b32_e32 v1, v3
	s_cbranch_scc1 .LBB16_68
.LBB16_69:
	s_andn2_b32 vcc_lo, exec_lo, s8
	s_cbranch_vccnz .LBB16_72
; %bb.70:
	s_clause 0x1
	s_load_dwordx4 s[4:7], s[10:11], 0x4
	s_load_dwordx2 s[8:9], s[10:11], 0xc4
	s_cmp_lt_u32 s28, 2
	s_waitcnt lgkmcnt(0)
	v_mul_hi_u32 v1, s5, v0
	v_add_nc_u32_e32 v1, v0, v1
	v_lshrrev_b32_e32 v1, s6, v1
	v_mul_lo_u32 v3, v1, s4
	v_sub_nc_u32_e32 v0, v0, v3
	v_mul_lo_u32 v38, v0, s8
	v_mul_lo_u32 v33, v0, s9
	s_cbranch_scc1 .LBB16_72
; %bb.71:
	s_clause 0x1
	s_load_dwordx4 s[4:7], s[10:11], 0x10
	s_load_dwordx2 s[8:9], s[10:11], 0xcc
	s_waitcnt lgkmcnt(0)
	v_mul_hi_u32 v0, s5, v1
	v_add_nc_u32_e32 v0, v1, v0
	v_lshrrev_b32_e32 v0, s6, v0
	v_mul_lo_u32 v0, v0, s4
	v_sub_nc_u32_e32 v0, v1, v0
	v_mad_u64_u32 v[38:39], null, v0, s8, v[38:39]
	v_mad_u64_u32 v[33:34], null, v0, s9, v[33:34]
.LBB16_72:
	s_waitcnt lgkmcnt(0)
	s_load_dwordx4 s[12:15], s[10:11], 0x148
	s_getpc_b64 s[10:11]
	s_add_u32 s10, s10, _ZN2at6native6invokeIZZZNS0_12_GLOBAL__N_121bessel_j1_kernel_cudaERNS_18TensorIteratorBaseEENKUlvE_clEvENKUlvE0_clEvEUlfE_j15function_traitsIS7_EEENT1_11result_typeERKT_PrKPcPKT0_i@rel32@lo+4
	s_addc_u32 s11, s11, _ZN2at6native6invokeIZZZNS0_12_GLOBAL__N_121bessel_j1_kernel_cudaERNS_18TensorIteratorBaseEENKUlvE_clEvENKUlvE0_clEvEUlfE_j15function_traitsIS7_EEENT1_11result_typeERKT_PrKPcPKT0_i@rel32@hi+12
	s_waitcnt lgkmcnt(0)
	v_mov_b32_e32 v0, s14
	v_mov_b32_e32 v1, s15
	s_swappc_b64 s[30:31], s[10:11]
	v_mov_b32_e32 v34, v0
	v_mov_b32_e32 v0, s14
	v_mov_b32_e32 v1, s15
	v_mov_b32_e32 v2, v31
	s_swappc_b64 s[30:31], s[10:11]
	v_mov_b32_e32 v31, v0
	v_mov_b32_e32 v0, s14
	;; [unrolled: 5-line block ×3, first 2 shown]
	v_mov_b32_e32 v1, s15
	v_mov_b32_e32 v2, v33
	s_swappc_b64 s[30:31], s[10:11]
	global_store_dword v35, v34, s[12:13]
	global_store_dword v36, v31, s[12:13]
	;; [unrolled: 1-line block ×4, first 2 shown]
	s_endpgm
.LBB16_73:
	v_mov_b32_e32 v31, 0
	v_mov_b32_e32 v2, 0
	s_branch .LBB16_79
.LBB16_74:
	v_mov_b32_e32 v31, 0
	v_mov_b32_e32 v2, 0
	s_branch .LBB16_95
.LBB16_75:
	v_mov_b32_e32 v31, 0
	v_mov_b32_e32 v2, 0
	;; [unrolled: 1-line block ×3, first 2 shown]
	s_mov_b32 s8, 0
.LBB16_76:
	s_and_b32 s9, s9, 3
	s_cmp_eq_u32 s9, 0
	s_cbranch_scc1 .LBB16_79
; %bb.77:
	s_lshl_b32 s4, s8, 3
	s_mul_i32 s6, s8, 12
	s_add_u32 s4, s10, s4
	s_addc_u32 s5, s11, 0
	s_add_u32 s4, s4, 0xc4
	s_addc_u32 s5, s5, 0
	;; [unrolled: 2-line block ×3, first 2 shown]
	.p2align	6
.LBB16_78:                              ; =>This Inner Loop Header: Depth=1
	s_clause 0x1
	s_load_dwordx2 s[30:31], s[6:7], 0x4
	s_load_dword s8, s[6:7], 0xc
	s_load_dwordx2 s[40:41], s[4:5], 0x0
	s_add_u32 s6, s6, 12
	s_addc_u32 s7, s7, 0
	s_add_u32 s4, s4, 8
	s_addc_u32 s5, s5, 0
	s_add_i32 s9, s9, -1
	s_cmp_lg_u32 s9, 0
	s_waitcnt lgkmcnt(0)
	v_mul_hi_u32 v1, s31, v0
	v_add_nc_u32_e32 v1, v0, v1
	v_lshrrev_b32_e32 v1, s8, v1
	v_mul_lo_u32 v3, v1, s30
	v_sub_nc_u32_e32 v0, v0, v3
	v_mad_u64_u32 v[31:32], null, v0, s40, v[31:32]
	v_mad_u64_u32 v[2:3], null, v0, s41, v[2:3]
	v_mov_b32_e32 v0, v1
	s_cbranch_scc1 .LBB16_78
.LBB16_79:
	s_cbranch_execnz .LBB16_82
.LBB16_80:
	s_waitcnt lgkmcnt(0)
	v_mul_hi_u32 v0, s21, v33
	s_andn2_b32 vcc_lo, exec_lo, s35
	v_add_nc_u32_e32 v0, v33, v0
	v_lshrrev_b32_e32 v0, s22, v0
	v_mul_lo_u32 v1, v0, s20
	v_sub_nc_u32_e32 v1, v33, v1
	v_mul_lo_u32 v31, v1, s16
	v_mul_lo_u32 v2, v1, s17
	s_cbranch_vccnz .LBB16_82
; %bb.81:
	v_mul_hi_u32 v1, s24, v0
	v_add_nc_u32_e32 v1, v0, v1
	v_lshrrev_b32_e32 v1, s25, v1
	v_mul_lo_u32 v1, v1, s23
	v_sub_nc_u32_e32 v0, v0, v1
	v_mad_u64_u32 v[31:32], null, v0, s18, v[31:32]
	v_mad_u64_u32 v[2:3], null, v0, s19, v[2:3]
.LBB16_82:
	s_waitcnt lgkmcnt(0)
	v_mov_b32_e32 v0, s14
	v_mov_b32_e32 v1, s15
	s_getpc_b64 s[4:5]
	s_add_u32 s4, s4, _ZN2at6native6invokeIZZZNS0_12_GLOBAL__N_121bessel_j1_kernel_cudaERNS_18TensorIteratorBaseEENKUlvE_clEvENKUlvE0_clEvEUlfE_j15function_traitsIS7_EEENT1_11result_typeERKT_PrKPcPKT0_i@rel32@lo+4
	s_addc_u32 s5, s5, _ZN2at6native6invokeIZZZNS0_12_GLOBAL__N_121bessel_j1_kernel_cudaERNS_18TensorIteratorBaseEENKUlvE_clEvENKUlvE0_clEvEUlfE_j15function_traitsIS7_EEENT1_11result_typeERKT_PrKPcPKT0_i@rel32@hi+12
	s_swappc_b64 s[30:31], s[4:5]
	v_add_nc_u32_e32 v33, 0x80, v33
	global_store_dword v31, v0, s[12:13]
	s_or_b32 exec_lo, exec_lo, s39
	s_mov_b32 s39, exec_lo
	v_cmpx_gt_i32_e64 s36, v33
	s_cbranch_execnz .LBB16_15
.LBB16_83:
	s_or_b32 exec_lo, exec_lo, s39
	s_mov_b32 s39, exec_lo
	v_cmpx_gt_i32_e64 s36, v33
	s_cbranch_execz .LBB16_99
.LBB16_84:
	s_andn2_b32 vcc_lo, exec_lo, s33
	s_cbranch_vccnz .LBB16_89
; %bb.85:
	s_andn2_b32 vcc_lo, exec_lo, s38
	s_cbranch_vccnz .LBB16_90
; %bb.86:
	s_add_i32 s9, s37, 1
	s_cmp_eq_u32 s29, 2
	s_cbranch_scc1 .LBB16_102
; %bb.87:
	v_mov_b32_e32 v2, 0
	v_mov_b32_e32 v31, 0
	;; [unrolled: 1-line block ×3, first 2 shown]
	s_and_b32 s8, s9, 28
	s_mov_b32 s30, 0
	s_mov_b64 s[4:5], s[10:11]
	s_mov_b64 s[6:7], s[26:27]
.LBB16_88:                              ; =>This Inner Loop Header: Depth=1
	s_clause 0x1
	s_load_dwordx8 s[40:47], s[4:5], 0x4
	s_load_dwordx4 s[56:59], s[4:5], 0x24
	s_load_dwordx8 s[48:55], s[6:7], 0x0
	s_add_u32 s4, s4, 48
	s_addc_u32 s5, s5, 0
	s_add_i32 s30, s30, 4
	s_add_u32 s6, s6, 32
	s_addc_u32 s7, s7, 0
	s_cmp_eq_u32 s8, s30
	s_waitcnt lgkmcnt(0)
	v_mul_hi_u32 v1, s41, v0
	v_add_nc_u32_e32 v1, v0, v1
	v_lshrrev_b32_e32 v1, s42, v1
	v_mul_hi_u32 v3, s44, v1
	v_mul_lo_u32 v5, v1, s40
	v_add_nc_u32_e32 v3, v1, v3
	v_sub_nc_u32_e32 v0, v0, v5
	v_lshrrev_b32_e32 v3, s45, v3
	v_mul_lo_u32 v5, v0, s48
	v_mul_lo_u32 v7, v0, s49
	v_mul_hi_u32 v4, s47, v3
	v_add_nc_u32_e32 v4, v3, v4
	v_lshrrev_b32_e32 v4, s56, v4
	v_mul_hi_u32 v6, s58, v4
	v_mul_lo_u32 v8, v4, s46
	v_add_nc_u32_e32 v0, v4, v6
	v_mul_lo_u32 v6, v3, s43
	v_sub_nc_u32_e32 v3, v3, v8
	v_lshrrev_b32_e32 v0, s59, v0
	v_mul_lo_u32 v8, v3, s52
	v_mul_lo_u32 v3, v3, s53
	v_sub_nc_u32_e32 v1, v1, v6
	v_mul_lo_u32 v9, v0, s57
	v_mul_lo_u32 v6, v1, s50
	;; [unrolled: 1-line block ×3, first 2 shown]
	v_sub_nc_u32_e32 v4, v4, v9
	v_add3_u32 v5, v5, v31, v6
	v_mul_lo_u32 v9, v4, s54
	v_mul_lo_u32 v4, v4, s55
	v_add3_u32 v1, v7, v2, v1
	v_add3_u32 v31, v8, v5, v9
	;; [unrolled: 1-line block ×3, first 2 shown]
	s_cbranch_scc0 .LBB16_88
	s_branch .LBB16_103
.LBB16_89:
                                        ; implicit-def: $vgpr31
                                        ; implicit-def: $vgpr2
	s_branch .LBB16_107
.LBB16_90:
	v_mov_b32_e32 v31, 0
	v_mov_b32_e32 v2, 0
	s_branch .LBB16_106
.LBB16_91:
	v_mov_b32_e32 v31, 0
	v_mov_b32_e32 v2, 0
	;; [unrolled: 1-line block ×3, first 2 shown]
	s_mov_b32 s8, 0
.LBB16_92:
	s_and_b32 s9, s9, 3
	s_cmp_eq_u32 s9, 0
	s_cbranch_scc1 .LBB16_95
; %bb.93:
	s_lshl_b32 s4, s8, 3
	s_mul_i32 s6, s8, 12
	s_add_u32 s4, s10, s4
	s_addc_u32 s5, s11, 0
	s_add_u32 s4, s4, 0xc4
	s_addc_u32 s5, s5, 0
	;; [unrolled: 2-line block ×3, first 2 shown]
	.p2align	6
.LBB16_94:                              ; =>This Inner Loop Header: Depth=1
	s_clause 0x1
	s_load_dwordx2 s[30:31], s[6:7], 0x4
	s_load_dword s8, s[6:7], 0xc
	s_load_dwordx2 s[40:41], s[4:5], 0x0
	s_add_u32 s6, s6, 12
	s_addc_u32 s7, s7, 0
	s_add_u32 s4, s4, 8
	s_addc_u32 s5, s5, 0
	s_add_i32 s9, s9, -1
	s_cmp_lg_u32 s9, 0
	s_waitcnt lgkmcnt(0)
	v_mul_hi_u32 v1, s31, v0
	v_add_nc_u32_e32 v1, v0, v1
	v_lshrrev_b32_e32 v1, s8, v1
	v_mul_lo_u32 v3, v1, s30
	v_sub_nc_u32_e32 v0, v0, v3
	v_mad_u64_u32 v[31:32], null, v0, s40, v[31:32]
	v_mad_u64_u32 v[2:3], null, v0, s41, v[2:3]
	v_mov_b32_e32 v0, v1
	s_cbranch_scc1 .LBB16_94
.LBB16_95:
	s_cbranch_execnz .LBB16_98
.LBB16_96:
	s_waitcnt lgkmcnt(0)
	v_mul_hi_u32 v0, s21, v33
	s_andn2_b32 vcc_lo, exec_lo, s35
	v_add_nc_u32_e32 v0, v33, v0
	v_lshrrev_b32_e32 v0, s22, v0
	v_mul_lo_u32 v1, v0, s20
	v_sub_nc_u32_e32 v1, v33, v1
	v_mul_lo_u32 v31, v1, s16
	v_mul_lo_u32 v2, v1, s17
	s_cbranch_vccnz .LBB16_98
; %bb.97:
	v_mul_hi_u32 v1, s24, v0
	v_add_nc_u32_e32 v1, v0, v1
	v_lshrrev_b32_e32 v1, s25, v1
	v_mul_lo_u32 v1, v1, s23
	v_sub_nc_u32_e32 v0, v0, v1
	v_mad_u64_u32 v[31:32], null, v0, s18, v[31:32]
	v_mad_u64_u32 v[2:3], null, v0, s19, v[2:3]
.LBB16_98:
	s_waitcnt lgkmcnt(0)
	v_mov_b32_e32 v0, s14
	v_mov_b32_e32 v1, s15
	s_getpc_b64 s[4:5]
	s_add_u32 s4, s4, _ZN2at6native6invokeIZZZNS0_12_GLOBAL__N_121bessel_j1_kernel_cudaERNS_18TensorIteratorBaseEENKUlvE_clEvENKUlvE0_clEvEUlfE_j15function_traitsIS7_EEENT1_11result_typeERKT_PrKPcPKT0_i@rel32@lo+4
	s_addc_u32 s5, s5, _ZN2at6native6invokeIZZZNS0_12_GLOBAL__N_121bessel_j1_kernel_cudaERNS_18TensorIteratorBaseEENKUlvE_clEvENKUlvE0_clEvEUlfE_j15function_traitsIS7_EEENT1_11result_typeERKT_PrKPcPKT0_i@rel32@hi+12
	s_swappc_b64 s[30:31], s[4:5]
	v_add_nc_u32_e32 v33, 0x80, v33
	global_store_dword v31, v0, s[12:13]
	s_or_b32 exec_lo, exec_lo, s39
	s_mov_b32 s39, exec_lo
	v_cmpx_gt_i32_e64 s36, v33
	s_cbranch_execnz .LBB16_84
.LBB16_99:
	s_or_b32 exec_lo, exec_lo, s39
	v_cmp_gt_i32_e32 vcc_lo, s36, v33
	s_and_saveexec_b32 s36, vcc_lo
	s_cbranch_execnz .LBB16_110
.LBB16_100:
	s_or_b32 exec_lo, exec_lo, s36
                                        ; implicit-def: $vgpr0
                                        ; implicit-def: $vgpr33
	s_andn2_saveexec_b32 s4, s34
	s_cbranch_execnz .LBB16_8
.LBB16_101:
	s_endpgm
.LBB16_102:
	v_mov_b32_e32 v31, 0
	v_mov_b32_e32 v2, 0
	;; [unrolled: 1-line block ×3, first 2 shown]
	s_mov_b32 s8, 0
.LBB16_103:
	s_and_b32 s9, s9, 3
	s_cmp_eq_u32 s9, 0
	s_cbranch_scc1 .LBB16_106
; %bb.104:
	s_lshl_b32 s4, s8, 3
	s_mul_i32 s6, s8, 12
	s_add_u32 s4, s10, s4
	s_addc_u32 s5, s11, 0
	s_add_u32 s4, s4, 0xc4
	s_addc_u32 s5, s5, 0
	;; [unrolled: 2-line block ×3, first 2 shown]
	.p2align	6
.LBB16_105:                             ; =>This Inner Loop Header: Depth=1
	s_clause 0x1
	s_load_dwordx2 s[30:31], s[6:7], 0x4
	s_load_dword s8, s[6:7], 0xc
	s_load_dwordx2 s[40:41], s[4:5], 0x0
	s_add_u32 s6, s6, 12
	s_addc_u32 s7, s7, 0
	s_add_u32 s4, s4, 8
	s_addc_u32 s5, s5, 0
	s_add_i32 s9, s9, -1
	s_cmp_lg_u32 s9, 0
	s_waitcnt lgkmcnt(0)
	v_mul_hi_u32 v1, s31, v0
	v_add_nc_u32_e32 v1, v0, v1
	v_lshrrev_b32_e32 v1, s8, v1
	v_mul_lo_u32 v3, v1, s30
	v_sub_nc_u32_e32 v0, v0, v3
	v_mad_u64_u32 v[31:32], null, v0, s40, v[31:32]
	v_mad_u64_u32 v[2:3], null, v0, s41, v[2:3]
	v_mov_b32_e32 v0, v1
	s_cbranch_scc1 .LBB16_105
.LBB16_106:
	s_cbranch_execnz .LBB16_109
.LBB16_107:
	s_waitcnt lgkmcnt(0)
	v_mul_hi_u32 v0, s21, v33
	s_andn2_b32 vcc_lo, exec_lo, s35
	v_add_nc_u32_e32 v0, v33, v0
	v_lshrrev_b32_e32 v0, s22, v0
	v_mul_lo_u32 v1, v0, s20
	v_sub_nc_u32_e32 v1, v33, v1
	v_mul_lo_u32 v31, v1, s16
	v_mul_lo_u32 v2, v1, s17
	s_cbranch_vccnz .LBB16_109
; %bb.108:
	v_mul_hi_u32 v1, s24, v0
	v_add_nc_u32_e32 v1, v0, v1
	v_lshrrev_b32_e32 v1, s25, v1
	v_mul_lo_u32 v1, v1, s23
	v_sub_nc_u32_e32 v0, v0, v1
	v_mad_u64_u32 v[31:32], null, v0, s18, v[31:32]
	v_mad_u64_u32 v[2:3], null, v0, s19, v[2:3]
.LBB16_109:
	s_waitcnt lgkmcnt(0)
	v_mov_b32_e32 v0, s14
	v_mov_b32_e32 v1, s15
	s_getpc_b64 s[4:5]
	s_add_u32 s4, s4, _ZN2at6native6invokeIZZZNS0_12_GLOBAL__N_121bessel_j1_kernel_cudaERNS_18TensorIteratorBaseEENKUlvE_clEvENKUlvE0_clEvEUlfE_j15function_traitsIS7_EEENT1_11result_typeERKT_PrKPcPKT0_i@rel32@lo+4
	s_addc_u32 s5, s5, _ZN2at6native6invokeIZZZNS0_12_GLOBAL__N_121bessel_j1_kernel_cudaERNS_18TensorIteratorBaseEENKUlvE_clEvENKUlvE0_clEvEUlfE_j15function_traitsIS7_EEENT1_11result_typeERKT_PrKPcPKT0_i@rel32@hi+12
	s_swappc_b64 s[30:31], s[4:5]
	v_add_nc_u32_e32 v33, 0x80, v33
	global_store_dword v31, v0, s[12:13]
	s_or_b32 exec_lo, exec_lo, s39
	v_cmp_gt_i32_e32 vcc_lo, s36, v33
	s_and_saveexec_b32 s36, vcc_lo
	s_cbranch_execz .LBB16_100
.LBB16_110:
	s_andn2_b32 vcc_lo, exec_lo, s33
	s_cbranch_vccnz .LBB16_115
; %bb.111:
	s_andn2_b32 vcc_lo, exec_lo, s38
	s_cbranch_vccnz .LBB16_116
; %bb.112:
	s_add_i32 s37, s37, 1
	s_cmp_eq_u32 s29, 2
	s_cbranch_scc1 .LBB16_117
; %bb.113:
	v_mov_b32_e32 v2, 0
	v_mov_b32_e32 v31, 0
	v_mov_b32_e32 v0, v33
	s_and_b32 s6, s37, 28
	s_mov_b32 s7, 0
	s_mov_b64 s[4:5], s[10:11]
.LBB16_114:                             ; =>This Inner Loop Header: Depth=1
	s_clause 0x1
	s_load_dwordx8 s[40:47], s[4:5], 0x4
	s_load_dwordx4 s[56:59], s[4:5], 0x24
	s_load_dwordx8 s[48:55], s[26:27], 0x0
	s_add_u32 s4, s4, 48
	s_addc_u32 s5, s5, 0
	s_add_i32 s7, s7, 4
	s_add_u32 s26, s26, 32
	s_addc_u32 s27, s27, 0
	s_cmp_eq_u32 s6, s7
	s_waitcnt lgkmcnt(0)
	v_mul_hi_u32 v1, s41, v0
	v_add_nc_u32_e32 v1, v0, v1
	v_lshrrev_b32_e32 v1, s42, v1
	v_mul_hi_u32 v3, s44, v1
	v_mul_lo_u32 v5, v1, s40
	v_add_nc_u32_e32 v3, v1, v3
	v_sub_nc_u32_e32 v0, v0, v5
	v_lshrrev_b32_e32 v3, s45, v3
	v_mul_lo_u32 v5, v0, s48
	v_mul_lo_u32 v7, v0, s49
	v_mul_hi_u32 v4, s47, v3
	v_add_nc_u32_e32 v4, v3, v4
	v_lshrrev_b32_e32 v4, s56, v4
	v_mul_hi_u32 v6, s58, v4
	v_mul_lo_u32 v8, v4, s46
	v_add_nc_u32_e32 v0, v4, v6
	v_mul_lo_u32 v6, v3, s43
	v_sub_nc_u32_e32 v3, v3, v8
	v_lshrrev_b32_e32 v0, s59, v0
	v_mul_lo_u32 v8, v3, s52
	v_mul_lo_u32 v3, v3, s53
	v_sub_nc_u32_e32 v1, v1, v6
	v_mul_lo_u32 v9, v0, s57
	v_mul_lo_u32 v6, v1, s50
	;; [unrolled: 1-line block ×3, first 2 shown]
	v_sub_nc_u32_e32 v4, v4, v9
	v_add3_u32 v5, v5, v31, v6
	v_mul_lo_u32 v9, v4, s54
	v_mul_lo_u32 v4, v4, s55
	v_add3_u32 v1, v7, v2, v1
	v_add3_u32 v31, v8, v5, v9
	;; [unrolled: 1-line block ×3, first 2 shown]
	s_cbranch_scc0 .LBB16_114
	s_branch .LBB16_118
.LBB16_115:
                                        ; implicit-def: $vgpr31
                                        ; implicit-def: $vgpr2
	s_branch .LBB16_122
.LBB16_116:
	v_mov_b32_e32 v31, 0
	v_mov_b32_e32 v2, 0
	s_branch .LBB16_121
.LBB16_117:
	v_mov_b32_e32 v31, 0
	v_mov_b32_e32 v2, 0
	;; [unrolled: 1-line block ×3, first 2 shown]
	s_mov_b32 s6, 0
.LBB16_118:
	s_and_b32 s8, s37, 3
	s_cmp_eq_u32 s8, 0
	s_cbranch_scc1 .LBB16_121
; %bb.119:
	s_lshl_b32 s4, s6, 3
	s_mul_i32 s6, s6, 12
	s_add_u32 s4, s10, s4
	s_addc_u32 s5, s11, 0
	s_add_u32 s4, s4, 0xc4
	s_addc_u32 s5, s5, 0
	;; [unrolled: 2-line block ×3, first 2 shown]
	.p2align	6
.LBB16_120:                             ; =>This Inner Loop Header: Depth=1
	s_clause 0x1
	s_load_dwordx2 s[26:27], s[6:7], 0x4
	s_load_dword s9, s[6:7], 0xc
	s_load_dwordx2 s[30:31], s[4:5], 0x0
	s_add_u32 s6, s6, 12
	s_addc_u32 s7, s7, 0
	s_add_u32 s4, s4, 8
	s_addc_u32 s5, s5, 0
	s_add_i32 s8, s8, -1
	s_cmp_lg_u32 s8, 0
	s_waitcnt lgkmcnt(0)
	v_mul_hi_u32 v1, s27, v0
	v_add_nc_u32_e32 v1, v0, v1
	v_lshrrev_b32_e32 v1, s9, v1
	v_mul_lo_u32 v3, v1, s26
	v_sub_nc_u32_e32 v0, v0, v3
	v_mad_u64_u32 v[31:32], null, v0, s30, v[31:32]
	v_mad_u64_u32 v[2:3], null, v0, s31, v[2:3]
	v_mov_b32_e32 v0, v1
	s_cbranch_scc1 .LBB16_120
.LBB16_121:
	s_cbranch_execnz .LBB16_124
.LBB16_122:
	s_waitcnt lgkmcnt(0)
	v_mul_hi_u32 v0, s21, v33
	s_andn2_b32 vcc_lo, exec_lo, s35
	v_add_nc_u32_e32 v0, v33, v0
	v_lshrrev_b32_e32 v0, s22, v0
	v_mul_lo_u32 v1, v0, s20
	v_sub_nc_u32_e32 v1, v33, v1
	v_mul_lo_u32 v31, v1, s16
	v_mul_lo_u32 v2, v1, s17
	s_cbranch_vccnz .LBB16_124
; %bb.123:
	v_mul_hi_u32 v1, s24, v0
	v_add_nc_u32_e32 v1, v0, v1
	v_lshrrev_b32_e32 v1, s25, v1
	v_mul_lo_u32 v1, v1, s23
	v_sub_nc_u32_e32 v0, v0, v1
	v_mad_u64_u32 v[31:32], null, v0, s18, v[31:32]
	v_mad_u64_u32 v[2:3], null, v0, s19, v[2:3]
.LBB16_124:
	s_waitcnt lgkmcnt(0)
	v_mov_b32_e32 v0, s14
	v_mov_b32_e32 v1, s15
	s_getpc_b64 s[4:5]
	s_add_u32 s4, s4, _ZN2at6native6invokeIZZZNS0_12_GLOBAL__N_121bessel_j1_kernel_cudaERNS_18TensorIteratorBaseEENKUlvE_clEvENKUlvE0_clEvEUlfE_j15function_traitsIS7_EEENT1_11result_typeERKT_PrKPcPKT0_i@rel32@lo+4
	s_addc_u32 s5, s5, _ZN2at6native6invokeIZZZNS0_12_GLOBAL__N_121bessel_j1_kernel_cudaERNS_18TensorIteratorBaseEENKUlvE_clEvENKUlvE0_clEvEUlfE_j15function_traitsIS7_EEENT1_11result_typeERKT_PrKPcPKT0_i@rel32@hi+12
	s_swappc_b64 s[30:31], s[4:5]
	global_store_dword v31, v0, s[12:13]
	s_or_b32 exec_lo, exec_lo, s36
                                        ; implicit-def: $vgpr0
                                        ; implicit-def: $vgpr33
	s_andn2_saveexec_b32 s4, s34
	s_cbranch_execz .LBB16_101
	s_branch .LBB16_8
	.section	.rodata,"a",@progbits
	.p2align	6, 0x0
	.amdhsa_kernel _ZN2at6native32elementwise_kernel_manual_unrollILi128ELi4EZNS0_22gpu_kernel_impl_nocastIZZZNS0_12_GLOBAL__N_121bessel_j1_kernel_cudaERNS_18TensorIteratorBaseEENKUlvE_clEvENKUlvE0_clEvEUlfE_EEvS5_RKT_EUlibE_EEviT1_
		.amdhsa_group_segment_fixed_size 0
		.amdhsa_private_segment_fixed_size 0
		.amdhsa_kernarg_size 360
		.amdhsa_user_sgpr_count 6
		.amdhsa_user_sgpr_private_segment_buffer 1
		.amdhsa_user_sgpr_dispatch_ptr 0
		.amdhsa_user_sgpr_queue_ptr 0
		.amdhsa_user_sgpr_kernarg_segment_ptr 1
		.amdhsa_user_sgpr_dispatch_id 0
		.amdhsa_user_sgpr_flat_scratch_init 0
		.amdhsa_user_sgpr_private_segment_size 0
		.amdhsa_wavefront_size32 1
		.amdhsa_uses_dynamic_stack 0
		.amdhsa_system_sgpr_private_segment_wavefront_offset 0
		.amdhsa_system_sgpr_workgroup_id_x 1
		.amdhsa_system_sgpr_workgroup_id_y 0
		.amdhsa_system_sgpr_workgroup_id_z 0
		.amdhsa_system_sgpr_workgroup_info 0
		.amdhsa_system_vgpr_workitem_id 0
		.amdhsa_next_free_vgpr 40
		.amdhsa_next_free_sgpr 60
		.amdhsa_reserve_vcc 1
		.amdhsa_reserve_flat_scratch 0
		.amdhsa_float_round_mode_32 0
		.amdhsa_float_round_mode_16_64 0
		.amdhsa_float_denorm_mode_32 3
		.amdhsa_float_denorm_mode_16_64 3
		.amdhsa_dx10_clamp 1
		.amdhsa_ieee_mode 1
		.amdhsa_fp16_overflow 0
		.amdhsa_workgroup_processor_mode 1
		.amdhsa_memory_ordered 1
		.amdhsa_forward_progress 1
		.amdhsa_shared_vgpr_count 0
		.amdhsa_exception_fp_ieee_invalid_op 0
		.amdhsa_exception_fp_denorm_src 0
		.amdhsa_exception_fp_ieee_div_zero 0
		.amdhsa_exception_fp_ieee_overflow 0
		.amdhsa_exception_fp_ieee_underflow 0
		.amdhsa_exception_fp_ieee_inexact 0
		.amdhsa_exception_int_div_zero 0
	.end_amdhsa_kernel
	.section	.text._ZN2at6native32elementwise_kernel_manual_unrollILi128ELi4EZNS0_22gpu_kernel_impl_nocastIZZZNS0_12_GLOBAL__N_121bessel_j1_kernel_cudaERNS_18TensorIteratorBaseEENKUlvE_clEvENKUlvE0_clEvEUlfE_EEvS5_RKT_EUlibE_EEviT1_,"axG",@progbits,_ZN2at6native32elementwise_kernel_manual_unrollILi128ELi4EZNS0_22gpu_kernel_impl_nocastIZZZNS0_12_GLOBAL__N_121bessel_j1_kernel_cudaERNS_18TensorIteratorBaseEENKUlvE_clEvENKUlvE0_clEvEUlfE_EEvS5_RKT_EUlibE_EEviT1_,comdat
.Lfunc_end16:
	.size	_ZN2at6native32elementwise_kernel_manual_unrollILi128ELi4EZNS0_22gpu_kernel_impl_nocastIZZZNS0_12_GLOBAL__N_121bessel_j1_kernel_cudaERNS_18TensorIteratorBaseEENKUlvE_clEvENKUlvE0_clEvEUlfE_EEvS5_RKT_EUlibE_EEviT1_, .Lfunc_end16-_ZN2at6native32elementwise_kernel_manual_unrollILi128ELi4EZNS0_22gpu_kernel_impl_nocastIZZZNS0_12_GLOBAL__N_121bessel_j1_kernel_cudaERNS_18TensorIteratorBaseEENKUlvE_clEvENKUlvE0_clEvEUlfE_EEvS5_RKT_EUlibE_EEviT1_
                                        ; -- End function
	.set _ZN2at6native32elementwise_kernel_manual_unrollILi128ELi4EZNS0_22gpu_kernel_impl_nocastIZZZNS0_12_GLOBAL__N_121bessel_j1_kernel_cudaERNS_18TensorIteratorBaseEENKUlvE_clEvENKUlvE0_clEvEUlfE_EEvS5_RKT_EUlibE_EEviT1_.num_vgpr, max(40, .L_ZN2at6native6invokeIZZZNS0_12_GLOBAL__N_121bessel_j1_kernel_cudaERNS_18TensorIteratorBaseEENKUlvE_clEvENKUlvE0_clEvEUlfE_j15function_traitsIS7_EEENT1_11result_typeERKT_PrKPcPKT0_i.num_vgpr)
	.set _ZN2at6native32elementwise_kernel_manual_unrollILi128ELi4EZNS0_22gpu_kernel_impl_nocastIZZZNS0_12_GLOBAL__N_121bessel_j1_kernel_cudaERNS_18TensorIteratorBaseEENKUlvE_clEvENKUlvE0_clEvEUlfE_EEvS5_RKT_EUlibE_EEviT1_.num_agpr, max(0, .L_ZN2at6native6invokeIZZZNS0_12_GLOBAL__N_121bessel_j1_kernel_cudaERNS_18TensorIteratorBaseEENKUlvE_clEvENKUlvE0_clEvEUlfE_j15function_traitsIS7_EEENT1_11result_typeERKT_PrKPcPKT0_i.num_agpr)
	.set _ZN2at6native32elementwise_kernel_manual_unrollILi128ELi4EZNS0_22gpu_kernel_impl_nocastIZZZNS0_12_GLOBAL__N_121bessel_j1_kernel_cudaERNS_18TensorIteratorBaseEENKUlvE_clEvENKUlvE0_clEvEUlfE_EEvS5_RKT_EUlibE_EEviT1_.numbered_sgpr, max(60, .L_ZN2at6native6invokeIZZZNS0_12_GLOBAL__N_121bessel_j1_kernel_cudaERNS_18TensorIteratorBaseEENKUlvE_clEvENKUlvE0_clEvEUlfE_j15function_traitsIS7_EEENT1_11result_typeERKT_PrKPcPKT0_i.numbered_sgpr)
	.set _ZN2at6native32elementwise_kernel_manual_unrollILi128ELi4EZNS0_22gpu_kernel_impl_nocastIZZZNS0_12_GLOBAL__N_121bessel_j1_kernel_cudaERNS_18TensorIteratorBaseEENKUlvE_clEvENKUlvE0_clEvEUlfE_EEvS5_RKT_EUlibE_EEviT1_.num_named_barrier, max(0, .L_ZN2at6native6invokeIZZZNS0_12_GLOBAL__N_121bessel_j1_kernel_cudaERNS_18TensorIteratorBaseEENKUlvE_clEvENKUlvE0_clEvEUlfE_j15function_traitsIS7_EEENT1_11result_typeERKT_PrKPcPKT0_i.num_named_barrier)
	.set _ZN2at6native32elementwise_kernel_manual_unrollILi128ELi4EZNS0_22gpu_kernel_impl_nocastIZZZNS0_12_GLOBAL__N_121bessel_j1_kernel_cudaERNS_18TensorIteratorBaseEENKUlvE_clEvENKUlvE0_clEvEUlfE_EEvS5_RKT_EUlibE_EEviT1_.private_seg_size, 0+max(.L_ZN2at6native6invokeIZZZNS0_12_GLOBAL__N_121bessel_j1_kernel_cudaERNS_18TensorIteratorBaseEENKUlvE_clEvENKUlvE0_clEvEUlfE_j15function_traitsIS7_EEENT1_11result_typeERKT_PrKPcPKT0_i.private_seg_size)
	.set _ZN2at6native32elementwise_kernel_manual_unrollILi128ELi4EZNS0_22gpu_kernel_impl_nocastIZZZNS0_12_GLOBAL__N_121bessel_j1_kernel_cudaERNS_18TensorIteratorBaseEENKUlvE_clEvENKUlvE0_clEvEUlfE_EEvS5_RKT_EUlibE_EEviT1_.uses_vcc, or(1, .L_ZN2at6native6invokeIZZZNS0_12_GLOBAL__N_121bessel_j1_kernel_cudaERNS_18TensorIteratorBaseEENKUlvE_clEvENKUlvE0_clEvEUlfE_j15function_traitsIS7_EEENT1_11result_typeERKT_PrKPcPKT0_i.uses_vcc)
	.set _ZN2at6native32elementwise_kernel_manual_unrollILi128ELi4EZNS0_22gpu_kernel_impl_nocastIZZZNS0_12_GLOBAL__N_121bessel_j1_kernel_cudaERNS_18TensorIteratorBaseEENKUlvE_clEvENKUlvE0_clEvEUlfE_EEvS5_RKT_EUlibE_EEviT1_.uses_flat_scratch, or(0, .L_ZN2at6native6invokeIZZZNS0_12_GLOBAL__N_121bessel_j1_kernel_cudaERNS_18TensorIteratorBaseEENKUlvE_clEvENKUlvE0_clEvEUlfE_j15function_traitsIS7_EEENT1_11result_typeERKT_PrKPcPKT0_i.uses_flat_scratch)
	.set _ZN2at6native32elementwise_kernel_manual_unrollILi128ELi4EZNS0_22gpu_kernel_impl_nocastIZZZNS0_12_GLOBAL__N_121bessel_j1_kernel_cudaERNS_18TensorIteratorBaseEENKUlvE_clEvENKUlvE0_clEvEUlfE_EEvS5_RKT_EUlibE_EEviT1_.has_dyn_sized_stack, or(0, .L_ZN2at6native6invokeIZZZNS0_12_GLOBAL__N_121bessel_j1_kernel_cudaERNS_18TensorIteratorBaseEENKUlvE_clEvENKUlvE0_clEvEUlfE_j15function_traitsIS7_EEENT1_11result_typeERKT_PrKPcPKT0_i.has_dyn_sized_stack)
	.set _ZN2at6native32elementwise_kernel_manual_unrollILi128ELi4EZNS0_22gpu_kernel_impl_nocastIZZZNS0_12_GLOBAL__N_121bessel_j1_kernel_cudaERNS_18TensorIteratorBaseEENKUlvE_clEvENKUlvE0_clEvEUlfE_EEvS5_RKT_EUlibE_EEviT1_.has_recursion, or(0, .L_ZN2at6native6invokeIZZZNS0_12_GLOBAL__N_121bessel_j1_kernel_cudaERNS_18TensorIteratorBaseEENKUlvE_clEvENKUlvE0_clEvEUlfE_j15function_traitsIS7_EEENT1_11result_typeERKT_PrKPcPKT0_i.has_recursion)
	.set _ZN2at6native32elementwise_kernel_manual_unrollILi128ELi4EZNS0_22gpu_kernel_impl_nocastIZZZNS0_12_GLOBAL__N_121bessel_j1_kernel_cudaERNS_18TensorIteratorBaseEENKUlvE_clEvENKUlvE0_clEvEUlfE_EEvS5_RKT_EUlibE_EEviT1_.has_indirect_call, or(0, .L_ZN2at6native6invokeIZZZNS0_12_GLOBAL__N_121bessel_j1_kernel_cudaERNS_18TensorIteratorBaseEENKUlvE_clEvENKUlvE0_clEvEUlfE_j15function_traitsIS7_EEENT1_11result_typeERKT_PrKPcPKT0_i.has_indirect_call)
	.section	.AMDGPU.csdata,"",@progbits
; Kernel info:
; codeLenInByte = 6224
; TotalNumSgprs: 62
; NumVgprs: 40
; ScratchSize: 0
; MemoryBound: 0
; FloatMode: 240
; IeeeMode: 1
; LDSByteSize: 0 bytes/workgroup (compile time only)
; SGPRBlocks: 0
; VGPRBlocks: 4
; NumSGPRsForWavesPerEU: 62
; NumVGPRsForWavesPerEU: 40
; Occupancy: 16
; WaveLimiterHint : 1
; COMPUTE_PGM_RSRC2:SCRATCH_EN: 0
; COMPUTE_PGM_RSRC2:USER_SGPR: 6
; COMPUTE_PGM_RSRC2:TRAP_HANDLER: 0
; COMPUTE_PGM_RSRC2:TGID_X_EN: 1
; COMPUTE_PGM_RSRC2:TGID_Y_EN: 0
; COMPUTE_PGM_RSRC2:TGID_Z_EN: 0
; COMPUTE_PGM_RSRC2:TIDIG_COMP_CNT: 0
	.text
	.p2align	2                               ; -- Begin function _ZN2at6native6invokeIZZZNS0_12_GLOBAL__N_121bessel_j1_kernel_cudaERNS_18TensorIteratorBaseEENKUlvE_clEvENKUlvE0_clEvEUlfE_i15function_traitsIS7_EEENT1_11result_typeERKT_PrKPcPKT0_PKN3c1010ScalarTypeEi
	.type	_ZN2at6native6invokeIZZZNS0_12_GLOBAL__N_121bessel_j1_kernel_cudaERNS_18TensorIteratorBaseEENKUlvE_clEvENKUlvE0_clEvEUlfE_i15function_traitsIS7_EEENT1_11result_typeERKT_PrKPcPKT0_PKN3c1010ScalarTypeEi,@function
_ZN2at6native6invokeIZZZNS0_12_GLOBAL__N_121bessel_j1_kernel_cudaERNS_18TensorIteratorBaseEENKUlvE_clEvENKUlvE0_clEvEUlfE_i15function_traitsIS7_EEENT1_11result_typeERKT_PrKPcPKT0_PKN3c1010ScalarTypeEi: ; @_ZN2at6native6invokeIZZZNS0_12_GLOBAL__N_121bessel_j1_kernel_cudaERNS_18TensorIteratorBaseEENKUlvE_clEvENKUlvE0_clEvEUlfE_i15function_traitsIS7_EEENT1_11result_typeERKT_PrKPcPKT0_PKN3c1010ScalarTypeEi
; %bb.0:
	s_waitcnt vmcnt(0) expcnt(0) lgkmcnt(0)
	v_mul_lo_u32 v2, v4, v2
	v_mov_b32_e32 v5, 10
	s_mov_b32 s5, 0
	v_cmp_gt_i16_sdwa s4, v3, v5 src0_sel:BYTE_0 src1_sel:DWORD
	v_ashrrev_i32_e32 v4, 31, v2
	v_add_co_u32 v0, vcc_lo, v0, v2
                                        ; implicit-def: $vgpr2
	v_add_co_ci_u32_e64 v1, null, v1, v4, vcc_lo
	s_and_saveexec_b32 s6, s4
	s_xor_b32 s4, exec_lo, s6
	s_cbranch_execz .LBB17_46
; %bb.1:
	v_mov_b32_e32 v2, 25
	s_mov_b32 s8, 0
	s_mov_b32 s7, 0
	v_cmp_gt_i16_sdwa s6, v3, v2 src0_sel:BYTE_0 src1_sel:DWORD
                                        ; implicit-def: $vgpr2
	s_and_saveexec_b32 s9, s6
	s_xor_b32 s6, exec_lo, s9
	s_cbranch_execz .LBB17_89
; %bb.2:
	v_mov_b32_e32 v2, 28
	s_mov_b32 s9, 0
	v_cmp_gt_i16_sdwa s7, v3, v2 src0_sel:BYTE_0 src1_sel:DWORD
                                        ; implicit-def: $vgpr2
	s_and_saveexec_b32 s10, s7
	s_xor_b32 s7, exec_lo, s10
	s_cbranch_execz .LBB17_18
; %bb.3:
	v_mov_b32_e32 v2, 43
	s_mov_b32 s10, 0
	s_mov_b32 s11, 0
	v_cmp_gt_i16_sdwa s8, v3, v2 src0_sel:BYTE_0 src1_sel:DWORD
                                        ; implicit-def: $vgpr2
	s_and_saveexec_b32 s9, s8
	s_xor_b32 s8, exec_lo, s9
	s_cbranch_execz .LBB17_13
; %bb.4:
	v_mov_b32_e32 v2, 45
	s_mov_b32 s9, 0
	v_cmp_gt_i16_sdwa s11, v3, v2 src0_sel:BYTE_0 src1_sel:DWORD
                                        ; implicit-def: $vgpr2
	s_and_saveexec_b32 s12, s11
	s_xor_b32 s11, exec_lo, s12
	s_cbranch_execz .LBB17_8
; %bb.5:
	v_mov_b32_e32 v2, 46
	s_mov_b32 s12, -1
	v_cmp_eq_u16_sdwa s13, v3, v2 src0_sel:BYTE_0 src1_sel:DWORD
                                        ; implicit-def: $vgpr2
	s_and_saveexec_b32 s10, s13
	s_cbranch_execz .LBB17_7
; %bb.6:
	flat_load_dword v2, v[0:1]
	s_mov_b32 s9, exec_lo
	s_xor_b32 s12, exec_lo, -1
	s_waitcnt vmcnt(0) lgkmcnt(0)
	v_lshlrev_b32_e32 v2, 16, v2
.LBB17_7:
	s_or_b32 exec_lo, exec_lo, s10
	s_and_b32 s10, s9, exec_lo
	s_and_b32 s9, s12, exec_lo
                                        ; implicit-def: $vgpr3
.LBB17_8:
	s_andn2_saveexec_b32 s11, s11
	s_cbranch_execz .LBB17_12
; %bb.9:
	v_mov_b32_e32 v2, 44
	s_mov_b32 s12, -1
	s_mov_b32 s14, s10
	v_cmp_eq_u16_sdwa s15, v3, v2 src0_sel:BYTE_0 src1_sel:DWORD
                                        ; implicit-def: $vgpr2
	s_and_saveexec_b32 s13, s15
	s_cbranch_execz .LBB17_11
; %bb.10:
	flat_load_ubyte v2, v[0:1]
	s_or_b32 s14, s10, exec_lo
	s_xor_b32 s12, exec_lo, -1
	s_waitcnt vmcnt(0) lgkmcnt(0)
	v_lshlrev_b32_e32 v3, 23, v2
	v_cmp_ne_u32_e32 vcc_lo, 0xff, v2
	v_cndmask_b32_e32 v3, 0x7f800001, v3, vcc_lo
	v_cmp_ne_u32_e32 vcc_lo, 0, v2
	v_cndmask_b32_e32 v2, 0x400000, v3, vcc_lo
.LBB17_11:
	s_or_b32 exec_lo, exec_lo, s13
	s_andn2_b32 s10, s10, exec_lo
	s_and_b32 s13, s14, exec_lo
	s_andn2_b32 s9, s9, exec_lo
	s_and_b32 s12, s12, exec_lo
	s_or_b32 s10, s10, s13
	s_or_b32 s9, s9, s12
.LBB17_12:
	s_or_b32 exec_lo, exec_lo, s11
	s_and_b32 s11, s10, exec_lo
	s_and_b32 s10, s9, exec_lo
                                        ; implicit-def: $vgpr3
.LBB17_13:
	s_andn2_saveexec_b32 s8, s8
	s_cbranch_execz .LBB17_17
; %bb.14:
	v_mov_b32_e32 v2, 29
	s_mov_b32 s9, -1
	s_mov_b32 s13, s11
	v_cmp_eq_u16_sdwa s14, v3, v2 src0_sel:BYTE_0 src1_sel:DWORD
                                        ; implicit-def: $vgpr2
	s_and_saveexec_b32 s12, s14
	s_cbranch_execz .LBB17_16
; %bb.15:
	flat_load_dwordx2 v[2:3], v[0:1]
	s_or_b32 s13, s11, exec_lo
	s_xor_b32 s9, exec_lo, -1
	s_waitcnt vmcnt(0) lgkmcnt(0)
	v_ffbh_u32_e32 v4, v3
	v_min_u32_e32 v4, 32, v4
	v_lshlrev_b64 v[2:3], v4, v[2:3]
	v_min_u32_e32 v2, 1, v2
	v_or_b32_e32 v2, v3, v2
	v_sub_nc_u32_e32 v3, 32, v4
	v_cvt_f32_u32_e32 v2, v2
	v_ldexp_f32 v2, v2, v3
.LBB17_16:
	s_or_b32 exec_lo, exec_lo, s12
	s_andn2_b32 s11, s11, exec_lo
	s_and_b32 s12, s13, exec_lo
	s_andn2_b32 s10, s10, exec_lo
	s_and_b32 s9, s9, exec_lo
	s_or_b32 s11, s11, s12
	s_or_b32 s10, s10, s9
.LBB17_17:
	s_or_b32 exec_lo, exec_lo, s8
	s_and_b32 s9, s11, exec_lo
	s_and_b32 s8, s10, exec_lo
                                        ; implicit-def: $vgpr3
.LBB17_18:
	s_andn2_saveexec_b32 s7, s7
	s_cbranch_execz .LBB17_34
; %bb.19:
	v_mov_b32_e32 v2, 26
	v_cmp_gt_i16_sdwa s10, v3, v2 src0_sel:BYTE_0 src1_sel:DWORD
                                        ; implicit-def: $vgpr2
	s_and_saveexec_b32 s11, s10
	s_xor_b32 s10, exec_lo, s11
	s_cbranch_execz .LBB17_25
; %bb.20:
	v_mov_b32_e32 v2, 27
	v_cmp_gt_i16_sdwa s11, v3, v2 src0_sel:BYTE_0 src1_sel:DWORD
                                        ; implicit-def: $vgpr2
	s_and_saveexec_b32 s12, s11
	s_xor_b32 s11, exec_lo, s12
	s_cbranch_execz .LBB17_22
; %bb.21:
	flat_load_dword v2, v[0:1]
	s_waitcnt vmcnt(0) lgkmcnt(0)
	v_cvt_f32_u32_e32 v2, v2
.LBB17_22:
	s_andn2_saveexec_b32 s11, s11
	s_cbranch_execz .LBB17_24
; %bb.23:
	flat_load_ushort v2, v[0:1]
	s_waitcnt vmcnt(0) lgkmcnt(0)
	v_cvt_f32_u32_e32 v2, v2
.LBB17_24:
	s_or_b32 exec_lo, exec_lo, s11
.LBB17_25:
	s_andn2_saveexec_b32 s10, s10
	s_cbranch_execz .LBB17_33
; %bb.26:
	flat_load_ubyte v3, v[0:1]
	s_mov_b32 s11, 0
	s_mov_b32 s12, exec_lo
	s_waitcnt vmcnt(0) lgkmcnt(0)
	v_cmpx_lt_i16_e32 0x7f, v3
	s_xor_b32 s12, exec_lo, s12
	s_cbranch_execz .LBB17_139
; %bb.27:
	s_mov_b32 s11, -1
	s_mov_b32 s13, exec_lo
	v_cmpx_eq_u16_e32 0x80, v3
; %bb.28:
	s_xor_b32 s11, exec_lo, -1
; %bb.29:
	s_or_b32 exec_lo, exec_lo, s13
	s_and_b32 s11, s11, exec_lo
	s_or_saveexec_b32 s12, s12
	v_mov_b32_e32 v2, 0x7f800001
	s_xor_b32 exec_lo, exec_lo, s12
	s_cbranch_execnz .LBB17_140
.LBB17_30:
	s_or_b32 exec_lo, exec_lo, s12
	s_and_saveexec_b32 s12, s11
	s_cbranch_execz .LBB17_32
.LBB17_31:
	v_and_b32_e32 v2, 0xffff, v3
	v_lshlrev_b32_e32 v3, 24, v3
	v_and_b32_e32 v4, 7, v2
	v_bfe_u32 v7, v2, 3, 4
	v_and_b32_e32 v3, 0x80000000, v3
	v_ffbh_u32_e32 v5, v4
	v_cmp_eq_u32_e32 vcc_lo, 0, v7
	v_min_u32_e32 v5, 32, v5
	v_subrev_nc_u32_e32 v6, 28, v5
	v_sub_nc_u32_e32 v5, 29, v5
	v_lshlrev_b32_e32 v2, v6, v2
	v_cndmask_b32_e32 v5, v7, v5, vcc_lo
	v_and_b32_e32 v2, 7, v2
	v_cndmask_b32_e32 v2, v4, v2, vcc_lo
	v_lshl_add_u32 v4, v5, 23, 0x3b800000
	v_lshlrev_b32_e32 v2, 20, v2
	v_or3_b32 v2, v3, v4, v2
.LBB17_32:
	s_or_b32 exec_lo, exec_lo, s12
.LBB17_33:
	s_or_b32 exec_lo, exec_lo, s10
	s_or_b32 s9, s9, exec_lo
.LBB17_34:
	s_or_b32 exec_lo, exec_lo, s7
	s_and_b32 s7, s9, exec_lo
	s_and_b32 s8, s8, exec_lo
                                        ; implicit-def: $vgpr3
	s_andn2_saveexec_b32 s6, s6
	s_cbranch_execnz .LBB17_90
.LBB17_35:
	s_or_b32 exec_lo, exec_lo, s6
	s_and_saveexec_b32 s6, s8
	s_cbranch_execnz .LBB17_115
.LBB17_36:
	s_or_b32 exec_lo, exec_lo, s6
	s_and_saveexec_b32 s6, s5
	s_xor_b32 s5, exec_lo, s6
	s_cbranch_execz .LBB17_38
.LBB17_37:
	flat_load_ubyte v0, v[0:1]
	s_or_b32 s7, s7, exec_lo
	s_waitcnt vmcnt(0) lgkmcnt(0)
	v_cmp_ne_u16_e32 vcc_lo, 0, v0
	v_cndmask_b32_e64 v2, 0, 1.0, vcc_lo
.LBB17_38:
	s_or_b32 exec_lo, exec_lo, s5
	s_and_b32 s5, s7, exec_lo
                                        ; implicit-def: $vgpr3
                                        ; implicit-def: $vgpr0_vgpr1
	s_andn2_saveexec_b32 s4, s4
	s_cbranch_execnz .LBB17_47
.LBB17_39:
	s_or_b32 exec_lo, exec_lo, s4
                                        ; implicit-def: $vgpr0
	s_and_saveexec_b32 s8, s5
	s_cbranch_execz .LBB17_88
.LBB17_40:
                                        ; implicit-def: $vgpr0
	s_mov_b32 s4, exec_lo
	s_waitcnt vmcnt(0) lgkmcnt(0)
	v_cmpx_ngt_f32_e32 0, v2
	s_xor_b32 s7, exec_lo, s4
	s_cbranch_execz .LBB17_124
; %bb.41:
	s_mov_b32 s4, exec_lo
                                        ; implicit-def: $vgpr0
	v_cmpx_ge_f32_e32 0x40a00000, v2
	s_xor_b32 s4, exec_lo, s4
	s_cbranch_execz .LBB17_43
; %bb.42:
	v_mul_f32_e32 v0, v2, v2
	v_fmaak_f32 v1, 0, v0, 0x441b3589
	v_fmaak_f32 v3, 0, v0, 0xce5691e2
	;; [unrolled: 1-line block ×12, first 2 shown]
	v_div_scale_f32 v1, null, v0, v0, v3
	v_div_scale_f32 v6, vcc_lo, v3, v0, v3
	v_rcp_f32_e32 v4, v1
	v_fma_f32 v5, -v1, v4, 1.0
	v_fmac_f32_e32 v4, v5, v4
	v_mul_f32_e32 v5, v6, v4
	v_fma_f32 v7, -v1, v5, v6
	v_fmac_f32_e32 v5, v7, v4
	v_fma_f32 v1, -v1, v5, v6
	v_div_fmas_f32 v1, v1, v4, v5
	v_div_fixup_f32 v0, v1, v0, v3
	v_fmaak_f32 v1, v2, v2, 0xc16ae95a
	v_mul_f32_e32 v0, v2, v0
	v_mul_f32_e32 v0, v1, v0
	v_fmaak_f32 v1, v2, v2, 0xc244dfb3
                                        ; implicit-def: $vgpr2
	v_mul_f32_e32 v0, v1, v0
.LBB17_43:
	s_andn2_saveexec_b32 s9, s4
	s_cbranch_execz .LBB17_123
; %bb.44:
	v_add_f32_e32 v0, 0xc016cbe4, v2
                                        ; implicit-def: $vgpr4
                                        ; implicit-def: $vgpr3
	v_and_b32_e32 v1, 0x7fffffff, v0
	v_cmp_ngt_f32_e64 s6, 0x48000000, |v0|
	v_lshrrev_b32_e32 v6, 23, v1
	s_and_saveexec_b32 s4, s6
	s_xor_b32 s10, exec_lo, s4
	s_cbranch_execz .LBB17_116
; %bb.45:
	s_mov_b32 s4, 0x7fffff
	v_mov_b32_e32 v5, 0
	v_and_or_b32 v13, v1, s4, 0x800000
	v_add_nc_u32_e32 v12, 0xffffff88, v6
	v_mad_u64_u32 v[3:4], null, 0xfe5163ab, v13, 0
	v_cmp_lt_u32_e32 vcc_lo, 63, v12
	v_cndmask_b32_e64 v14, 0, 0xffffffc0, vcc_lo
	v_mad_u64_u32 v[7:8], null, 0x3c439041, v13, v[4:5]
	v_add_nc_u32_e32 v14, v14, v12
	v_mov_b32_e32 v4, v8
	v_cmp_lt_u32_e64 s4, 31, v14
	v_mad_u64_u32 v[8:9], null, 0xdb629599, v13, v[4:5]
	v_cndmask_b32_e64 v15, 0, 0xffffffe0, s4
	v_mov_b32_e32 v4, v9
	v_cndmask_b32_e32 v3, v8, v3, vcc_lo
	v_mad_u64_u32 v[9:10], null, 0xf534ddc0, v13, v[4:5]
	v_mov_b32_e32 v4, v10
	v_cndmask_b32_e32 v7, v9, v7, vcc_lo
	v_mad_u64_u32 v[10:11], null, 0xfc2757d1, v13, v[4:5]
	v_cndmask_b32_e64 v3, v7, v3, s4
	v_mov_b32_e32 v4, v11
	v_mad_u64_u32 v[11:12], null, 0x4e441529, v13, v[4:5]
	v_mov_b32_e32 v4, v12
	v_add_nc_u32_e32 v12, v15, v14
	v_cndmask_b32_e32 v14, v11, v9, vcc_lo
	v_mad_u64_u32 v[4:5], null, 0xa2f9836e, v13, v[4:5]
	v_cmp_lt_u32_e64 s5, 31, v12
	v_cndmask_b32_e64 v13, 0, 0xffffffe0, s5
	v_cndmask_b32_e32 v4, v4, v10, vcc_lo
	v_cndmask_b32_e32 v5, v5, v11, vcc_lo
	;; [unrolled: 1-line block ×3, first 2 shown]
	v_add_nc_u32_e32 v11, v13, v12
	v_cndmask_b32_e64 v9, v4, v14, s4
	v_cndmask_b32_e64 v4, v5, v4, s4
	;; [unrolled: 1-line block ×4, first 2 shown]
	v_sub_nc_u32_e32 v12, 32, v11
	v_cmp_eq_u32_e32 vcc_lo, 0, v11
	v_cndmask_b32_e64 v4, v4, v9, s5
	v_cndmask_b32_e64 v9, v9, v5, s5
	;; [unrolled: 1-line block ×4, first 2 shown]
	v_alignbit_b32 v13, v4, v9, v12
	v_alignbit_b32 v8, v9, v5, v12
	;; [unrolled: 1-line block ×3, first 2 shown]
	v_cndmask_b32_e32 v4, v13, v4, vcc_lo
	v_cndmask_b32_e32 v7, v8, v9, vcc_lo
	;; [unrolled: 1-line block ×3, first 2 shown]
	v_bfe_u32 v8, v4, 29, 1
	v_alignbit_b32 v9, v4, v7, 30
	v_alignbit_b32 v7, v7, v5, 30
	v_alignbit_b32 v3, v5, v3, 30
	v_sub_nc_u32_e32 v10, 0, v8
	v_xor_b32_e32 v9, v9, v10
	v_xor_b32_e32 v5, v7, v10
	;; [unrolled: 1-line block ×3, first 2 shown]
	v_lshrrev_b32_e32 v10, 29, v4
	v_lshrrev_b32_e32 v4, 30, v4
	v_ffbh_u32_e32 v11, v9
	v_add_nc_u32_e32 v4, v8, v4
	v_min_u32_e32 v11, 32, v11
	v_sub_nc_u32_e32 v7, 31, v11
	v_lshlrev_b32_e32 v12, 23, v11
	v_alignbit_b32 v9, v9, v5, v7
	v_alignbit_b32 v3, v5, v3, v7
	v_lshlrev_b32_e32 v5, 31, v10
	v_alignbit_b32 v7, v9, v3, 9
	v_or_b32_e32 v10, 0.5, v5
	v_lshrrev_b32_e32 v9, 9, v9
	v_or_b32_e32 v5, 0x33000000, v5
	v_ffbh_u32_e32 v13, v7
	v_sub_nc_u32_e32 v10, v10, v12
	v_min_u32_e32 v12, 32, v13
	v_or_b32_e32 v9, v9, v10
	v_not_b32_e32 v10, v12
	v_mul_f32_e32 v13, 0x3fc90fda, v9
	v_add_lshl_u32 v11, v12, v11, 23
	v_alignbit_b32 v3, v7, v3, v10
	v_fma_f32 v7, 0x3fc90fda, v9, -v13
	v_sub_nc_u32_e32 v5, v5, v11
	v_lshrrev_b32_e32 v3, 9, v3
	v_fmamk_f32 v7, v9, 0x33a22168, v7
	v_or_b32_e32 v3, v5, v3
	v_fmac_f32_e32 v7, 0x3fc90fda, v3
	v_add_f32_e32 v3, v13, v7
	s_or_saveexec_b32 s4, s10
	v_mul_f32_e64 v8, 0x3f22f983, |v0|
	s_xor_b32 exec_lo, exec_lo, s4
	s_branch .LBB17_117
.LBB17_46:
	s_andn2_saveexec_b32 s4, s4
	s_cbranch_execz .LBB17_39
.LBB17_47:
	v_mov_b32_e32 v2, 4
	v_cmp_gt_i16_sdwa s6, v3, v2 src0_sel:BYTE_0 src1_sel:DWORD
                                        ; implicit-def: $vgpr2
	s_and_saveexec_b32 s7, s6
	s_xor_b32 s6, exec_lo, s7
	s_cbranch_execz .LBB17_69
; %bb.48:
	v_mov_b32_e32 v2, 7
	v_cmp_gt_i16_sdwa s7, v3, v2 src0_sel:BYTE_0 src1_sel:DWORD
                                        ; implicit-def: $vgpr2
	s_and_saveexec_b32 s8, s7
	s_xor_b32 s7, exec_lo, s8
	s_cbranch_execz .LBB17_58
; %bb.49:
	;; [unrolled: 7-line block ×4, first 2 shown]
	flat_load_dwordx2 v[0:1], v[0:1]
	s_waitcnt vmcnt(0) lgkmcnt(0)
	v_cvt_f32_f64_e32 v2, v[0:1]
                                        ; implicit-def: $vgpr0_vgpr1
.LBB17_52:
	s_andn2_saveexec_b32 s9, s9
	s_cbranch_execz .LBB17_54
; %bb.53:
	flat_load_dword v2, v[0:1]
.LBB17_54:
	s_or_b32 exec_lo, exec_lo, s9
                                        ; implicit-def: $vgpr0_vgpr1
.LBB17_55:
	s_andn2_saveexec_b32 s8, s8
	s_cbranch_execz .LBB17_57
; %bb.56:
	flat_load_dword v0, v[0:1]
	s_waitcnt vmcnt(0) lgkmcnt(0)
	v_cvt_f32_f16_e32 v2, v0
.LBB17_57:
	s_or_b32 exec_lo, exec_lo, s8
                                        ; implicit-def: $vgpr0_vgpr1
                                        ; implicit-def: $vgpr3
.LBB17_58:
	s_andn2_saveexec_b32 s7, s7
	s_cbranch_execz .LBB17_68
; %bb.59:
	s_waitcnt vmcnt(0) lgkmcnt(0)
	v_mov_b32_e32 v2, 5
	v_cmp_gt_i16_sdwa s8, v3, v2 src0_sel:BYTE_0 src1_sel:DWORD
                                        ; implicit-def: $vgpr2
	s_and_saveexec_b32 s9, s8
	s_xor_b32 s8, exec_lo, s9
	s_cbranch_execz .LBB17_65
; %bb.60:
	v_mov_b32_e32 v2, 6
	v_cmp_gt_i16_sdwa s9, v3, v2 src0_sel:BYTE_0 src1_sel:DWORD
                                        ; implicit-def: $vgpr2
	s_and_saveexec_b32 s10, s9
	s_xor_b32 s9, exec_lo, s10
	s_cbranch_execz .LBB17_62
; %bb.61:
	flat_load_dwordx2 v[0:1], v[0:1]
	s_waitcnt vmcnt(0) lgkmcnt(0)
	v_cvt_f32_f64_e32 v2, v[0:1]
                                        ; implicit-def: $vgpr0_vgpr1
.LBB17_62:
	s_andn2_saveexec_b32 s9, s9
	s_cbranch_execz .LBB17_64
; %bb.63:
	flat_load_dword v2, v[0:1]
.LBB17_64:
	s_or_b32 exec_lo, exec_lo, s9
                                        ; implicit-def: $vgpr0_vgpr1
.LBB17_65:
	s_andn2_saveexec_b32 s8, s8
	s_cbranch_execz .LBB17_67
; %bb.66:
	flat_load_ushort v0, v[0:1]
	s_waitcnt vmcnt(0) lgkmcnt(0)
	v_cvt_f32_f16_e32 v2, v0
.LBB17_67:
	s_or_b32 exec_lo, exec_lo, s8
.LBB17_68:
	s_or_b32 exec_lo, exec_lo, s7
                                        ; implicit-def: $vgpr3
                                        ; implicit-def: $vgpr0_vgpr1
.LBB17_69:
	s_andn2_saveexec_b32 s6, s6
	s_cbranch_execz .LBB17_87
; %bb.70:
	s_waitcnt vmcnt(0) lgkmcnt(0)
	v_mov_b32_e32 v2, 1
	v_cmp_gt_i16_sdwa s7, v3, v2 src0_sel:BYTE_0 src1_sel:DWORD
                                        ; implicit-def: $vgpr2
	s_and_saveexec_b32 s8, s7
	s_xor_b32 s7, exec_lo, s8
	s_cbranch_execz .LBB17_80
; %bb.71:
	v_mov_b32_e32 v2, 2
	v_cmp_gt_i16_sdwa s8, v3, v2 src0_sel:BYTE_0 src1_sel:DWORD
                                        ; implicit-def: $vgpr2
	s_and_saveexec_b32 s9, s8
	s_xor_b32 s8, exec_lo, s9
	s_cbranch_execz .LBB17_77
; %bb.72:
	;; [unrolled: 7-line block ×3, first 2 shown]
	flat_load_dwordx2 v[0:1], v[0:1]
	s_waitcnt vmcnt(0) lgkmcnt(0)
	v_xor_b32_e32 v2, v0, v1
	v_ffbh_i32_e32 v3, v1
	v_ashrrev_i32_e32 v2, 31, v2
	v_add_nc_u32_e32 v3, -1, v3
	v_add_nc_u32_e32 v2, 32, v2
	v_min_u32_e32 v2, v3, v2
	v_lshlrev_b64 v[0:1], v2, v[0:1]
	v_min_u32_e32 v0, 1, v0
	v_or_b32_e32 v0, v1, v0
	v_sub_nc_u32_e32 v1, 32, v2
	v_cvt_f32_i32_e32 v0, v0
	v_ldexp_f32 v2, v0, v1
                                        ; implicit-def: $vgpr0_vgpr1
.LBB17_74:
	s_andn2_saveexec_b32 s9, s9
	s_cbranch_execz .LBB17_76
; %bb.75:
	flat_load_dword v0, v[0:1]
	s_waitcnt vmcnt(0) lgkmcnt(0)
	v_cvt_f32_i32_e32 v2, v0
.LBB17_76:
	s_or_b32 exec_lo, exec_lo, s9
                                        ; implicit-def: $vgpr0_vgpr1
.LBB17_77:
	s_andn2_saveexec_b32 s8, s8
	s_cbranch_execz .LBB17_79
; %bb.78:
	flat_load_sshort v0, v[0:1]
	s_waitcnt vmcnt(0) lgkmcnt(0)
	v_cvt_f32_i32_e32 v2, v0
.LBB17_79:
	s_or_b32 exec_lo, exec_lo, s8
                                        ; implicit-def: $vgpr0_vgpr1
                                        ; implicit-def: $vgpr3
.LBB17_80:
	s_andn2_saveexec_b32 s7, s7
	s_cbranch_execz .LBB17_86
; %bb.81:
	v_mov_b32_e32 v2, 0
	v_cmp_gt_i16_sdwa s8, v3, v2 src0_sel:BYTE_0 src1_sel:DWORD
                                        ; implicit-def: $vgpr2
	s_and_saveexec_b32 s9, s8
	s_xor_b32 s8, exec_lo, s9
	s_cbranch_execz .LBB17_83
; %bb.82:
	flat_load_sbyte v0, v[0:1]
	s_waitcnt vmcnt(0) lgkmcnt(0)
	v_cvt_f32_i32_e32 v2, v0
                                        ; implicit-def: $vgpr0_vgpr1
.LBB17_83:
	s_andn2_saveexec_b32 s8, s8
	s_cbranch_execz .LBB17_85
; %bb.84:
	flat_load_ubyte v0, v[0:1]
	s_waitcnt vmcnt(0) lgkmcnt(0)
	v_cvt_f32_ubyte0_e32 v2, v0
.LBB17_85:
	s_or_b32 exec_lo, exec_lo, s8
.LBB17_86:
	s_or_b32 exec_lo, exec_lo, s7
.LBB17_87:
	s_or_b32 exec_lo, exec_lo, s6
	s_or_b32 s5, s5, exec_lo
	s_or_b32 exec_lo, exec_lo, s4
                                        ; implicit-def: $vgpr0
	s_and_saveexec_b32 s8, s5
	s_cbranch_execnz .LBB17_40
.LBB17_88:
	s_or_b32 exec_lo, exec_lo, s8
	s_waitcnt vmcnt(0) lgkmcnt(0)
	s_setpc_b64 s[30:31]
.LBB17_89:
	s_andn2_saveexec_b32 s6, s6
	s_cbranch_execz .LBB17_35
.LBB17_90:
	v_mov_b32_e32 v2, 22
	s_mov_b32 s9, s7
	v_cmp_gt_i16_sdwa s5, v3, v2 src0_sel:BYTE_0 src1_sel:DWORD
                                        ; implicit-def: $vgpr2
	s_and_saveexec_b32 s10, s5
	s_xor_b32 s5, exec_lo, s10
	s_cbranch_execz .LBB17_106
; %bb.91:
	v_mov_b32_e32 v2, 23
	v_cmp_gt_i16_sdwa s9, v3, v2 src0_sel:BYTE_0 src1_sel:DWORD
                                        ; implicit-def: $vgpr2
	s_and_saveexec_b32 s10, s9
	s_xor_b32 s9, exec_lo, s10
	s_cbranch_execz .LBB17_103
; %bb.92:
	v_mov_b32_e32 v2, 24
	v_cmp_gt_i16_sdwa s10, v3, v2 src0_sel:BYTE_0 src1_sel:DWORD
                                        ; implicit-def: $vgpr2
	s_and_saveexec_b32 s11, s10
	s_xor_b32 s10, exec_lo, s11
	s_cbranch_execz .LBB17_100
; %bb.93:
	flat_load_ubyte v3, v[0:1]
	s_mov_b32 s11, 0
	s_mov_b32 s12, exec_lo
	s_waitcnt vmcnt(0) lgkmcnt(0)
	v_cmpx_lt_i16_e32 0x7f, v3
	s_xor_b32 s12, exec_lo, s12
	s_cbranch_execz .LBB17_141
; %bb.94:
	s_mov_b32 s11, -1
	s_mov_b32 s13, exec_lo
	v_cmpx_eq_u16_e32 0x80, v3
; %bb.95:
	s_xor_b32 s11, exec_lo, -1
; %bb.96:
	s_or_b32 exec_lo, exec_lo, s13
	s_and_b32 s11, s11, exec_lo
	s_or_saveexec_b32 s12, s12
	v_mov_b32_e32 v2, 0x7f800001
	s_xor_b32 exec_lo, exec_lo, s12
	s_cbranch_execnz .LBB17_142
.LBB17_97:
	s_or_b32 exec_lo, exec_lo, s12
	s_and_saveexec_b32 s12, s11
	s_cbranch_execz .LBB17_99
.LBB17_98:
	v_and_b32_e32 v2, 0xffff, v3
	v_lshlrev_b32_e32 v3, 24, v3
	v_and_b32_e32 v4, 3, v2
	v_bfe_u32 v7, v2, 2, 5
	v_and_b32_e32 v3, 0x80000000, v3
	v_ffbh_u32_e32 v5, v4
	v_cmp_eq_u32_e32 vcc_lo, 0, v7
	v_min_u32_e32 v5, 32, v5
	v_subrev_nc_u32_e32 v6, 29, v5
	v_sub_nc_u32_e32 v5, 30, v5
	v_lshlrev_b32_e32 v2, v6, v2
	v_cndmask_b32_e32 v5, v7, v5, vcc_lo
	v_and_b32_e32 v2, 3, v2
	v_cndmask_b32_e32 v2, v4, v2, vcc_lo
	v_lshl_add_u32 v4, v5, 23, 0x37800000
	v_lshlrev_b32_e32 v2, 21, v2
	v_or3_b32 v2, v3, v4, v2
.LBB17_99:
	s_or_b32 exec_lo, exec_lo, s12
.LBB17_100:
	s_andn2_saveexec_b32 s10, s10
	s_cbranch_execz .LBB17_102
; %bb.101:
	flat_load_ubyte v2, v[0:1]
	s_waitcnt vmcnt(0) lgkmcnt(0)
	v_lshlrev_b32_e32 v2, 24, v2
	v_and_b32_e32 v3, 0x7f000000, v2
	v_ffbh_u32_e32 v4, v3
	v_add_nc_u32_e32 v6, 0x1000000, v3
	v_cmp_ne_u32_e32 vcc_lo, 0, v3
	v_min_u32_e32 v4, 32, v4
	v_sub_nc_u32_e64 v4, v4, 4 clamp
	v_lshlrev_b32_e32 v5, v4, v3
	v_lshlrev_b32_e32 v4, 23, v4
	v_lshrrev_b32_e32 v5, 4, v5
	v_sub_nc_u32_e32 v4, v5, v4
	v_ashrrev_i32_e32 v5, 8, v6
	v_add_nc_u32_e32 v4, 0x3c000000, v4
	v_and_or_b32 v4, 0x7f800000, v5, v4
	v_cndmask_b32_e32 v3, 0, v4, vcc_lo
	v_and_or_b32 v2, 0x80000000, v2, v3
.LBB17_102:
	s_or_b32 exec_lo, exec_lo, s10
.LBB17_103:
	s_andn2_saveexec_b32 s9, s9
	s_cbranch_execz .LBB17_105
; %bb.104:
	flat_load_ubyte v2, v[0:1]
	s_waitcnt vmcnt(0) lgkmcnt(0)
	v_lshlrev_b32_e32 v3, 25, v2
	v_lshlrev_b16 v2, 8, v2
	v_lshrrev_b32_e32 v4, 4, v3
	v_and_or_b32 v5, 0x7f00, v2, 0.5
	v_cmp_gt_u32_e32 vcc_lo, 0x8000000, v3
	v_bfe_i32 v2, v2, 0, 16
	v_or_b32_e32 v4, 0x70000000, v4
	v_add_f32_e32 v5, -0.5, v5
	v_mul_f32_e32 v4, 0x7800000, v4
	v_cndmask_b32_e32 v3, v4, v5, vcc_lo
	v_and_or_b32 v2, 0x80000000, v2, v3
.LBB17_105:
	s_or_b32 exec_lo, exec_lo, s9
	s_or_b32 s9, s7, exec_lo
                                        ; implicit-def: $vgpr3
.LBB17_106:
	s_or_saveexec_b32 s5, s5
	s_mov_b32 s10, 0
	s_mov_b32 s11, s8
	s_xor_b32 exec_lo, exec_lo, s5
	s_cbranch_execz .LBB17_114
; %bb.107:
	v_mov_b32_e32 v2, 14
	s_mov_b32 s10, s8
	s_mov_b32 s11, s9
	v_cmp_gt_i16_sdwa s12, v3, v2 src0_sel:BYTE_0 src1_sel:DWORD
                                        ; implicit-def: $vgpr2
	s_and_saveexec_b32 s13, s12
	s_xor_b32 s12, exec_lo, s13
	s_cbranch_execz .LBB17_111
; %bb.108:
	v_mov_b32_e32 v2, 15
	s_mov_b32 s10, -1
	s_mov_b32 s11, s9
	v_cmp_eq_u16_sdwa s14, v3, v2 src0_sel:BYTE_0 src1_sel:DWORD
                                        ; implicit-def: $vgpr2
	s_and_saveexec_b32 s13, s14
	s_cbranch_execz .LBB17_110
; %bb.109:
	flat_load_ushort v2, v[0:1]
	s_or_b32 s11, s9, exec_lo
	s_xor_b32 s10, exec_lo, -1
	s_waitcnt vmcnt(0) lgkmcnt(0)
	v_lshlrev_b32_e32 v2, 16, v2
.LBB17_110:
	s_or_b32 exec_lo, exec_lo, s13
	s_andn2_b32 s13, s9, exec_lo
	s_and_b32 s11, s11, exec_lo
	s_andn2_b32 s14, s8, exec_lo
	s_and_b32 s10, s10, exec_lo
	s_or_b32 s11, s13, s11
	s_or_b32 s10, s14, s10
                                        ; implicit-def: $vgpr3
.LBB17_111:
	s_or_saveexec_b32 s12, s12
	s_mov_b32 s13, 0
	s_xor_b32 exec_lo, exec_lo, s12
; %bb.112:
	v_mov_b32_e32 v4, 11
	s_andn2_b32 s10, s10, exec_lo
	s_mov_b32 s13, exec_lo
	v_cmp_ne_u16_sdwa s14, v3, v4 src0_sel:BYTE_0 src1_sel:DWORD
	s_and_b32 s14, s14, exec_lo
	s_or_b32 s10, s10, s14
; %bb.113:
	s_or_b32 exec_lo, exec_lo, s12
	s_andn2_b32 s9, s9, exec_lo
	s_and_b32 s11, s11, exec_lo
	s_and_b32 s12, s10, exec_lo
	s_or_b32 s9, s9, s11
	s_andn2_b32 s11, s8, exec_lo
	s_and_b32 s10, s13, exec_lo
	s_or_b32 s11, s11, s12
.LBB17_114:
	s_or_b32 exec_lo, exec_lo, s5
	s_andn2_b32 s5, s7, exec_lo
	s_and_b32 s7, s9, exec_lo
	s_andn2_b32 s8, s8, exec_lo
	s_and_b32 s9, s11, exec_lo
	s_or_b32 s7, s5, s7
	s_and_b32 s5, s10, exec_lo
	s_or_b32 s8, s8, s9
	s_or_b32 exec_lo, exec_lo, s6
	s_and_saveexec_b32 s6, s8
	s_cbranch_execz .LBB17_36
.LBB17_115:
	s_trap 2
	; divergent unreachable
	s_andn2_b32 s5, s5, exec_lo
	s_or_b32 exec_lo, exec_lo, s6
	s_and_saveexec_b32 s6, s5
	s_xor_b32 s5, exec_lo, s6
	s_cbranch_execnz .LBB17_37
	s_branch .LBB17_38
.LBB17_116:
	s_or_saveexec_b32 s4, s10
	v_mul_f32_e64 v8, 0x3f22f983, |v0|
	s_xor_b32 exec_lo, exec_lo, s4
.LBB17_117:
	v_rndne_f32_e32 v4, v8
	v_fma_f32 v3, 0xbfc90fda, v4, |v0|
	v_fmamk_f32 v3, v4, 0xb3a22168, v3
	v_fmamk_f32 v3, v4, 0xa7c234c4, v3
	v_cvt_i32_f32_e32 v4, v4
; %bb.118:
	s_or_b32 exec_lo, exec_lo, s4
                                        ; implicit-def: $vgpr7
                                        ; implicit-def: $vgpr5
	s_and_saveexec_b32 s4, s6
	s_xor_b32 s6, exec_lo, s4
	s_cbranch_execz .LBB17_120
; %bb.119:
	s_mov_b32 s4, 0x7fffff
	v_mov_b32_e32 v9, 0
	v_and_or_b32 v15, v1, s4, 0x800000
	v_mad_u64_u32 v[7:8], null, 0xfe5163ab, v15, 0
	v_mad_u64_u32 v[10:11], null, 0x3c439041, v15, v[8:9]
	v_mov_b32_e32 v8, v11
	v_mad_u64_u32 v[11:12], null, 0xdb629599, v15, v[8:9]
	v_mov_b32_e32 v8, v12
	;; [unrolled: 2-line block ×3, first 2 shown]
	v_add_nc_u32_e32 v13, 0xffffff88, v6
	v_mad_u64_u32 v[5:6], null, 0xfc2757d1, v15, v[8:9]
	v_cmp_lt_u32_e32 vcc_lo, 63, v13
	v_cndmask_b32_e64 v14, 0, 0xffffffc0, vcc_lo
	v_mov_b32_e32 v8, v6
	v_cndmask_b32_e32 v10, v12, v10, vcc_lo
	v_cndmask_b32_e32 v7, v11, v7, vcc_lo
	v_add_nc_u32_e32 v6, v14, v13
	v_mad_u64_u32 v[13:14], null, 0x4e441529, v15, v[8:9]
	v_cmp_lt_u32_e64 s4, 31, v6
	v_mov_b32_e32 v8, v14
	v_cndmask_b32_e64 v16, 0, 0xffffffe0, s4
	v_cndmask_b32_e64 v7, v10, v7, s4
	v_mad_u64_u32 v[8:9], null, 0xa2f9836e, v15, v[8:9]
	v_add_nc_u32_e32 v6, v16, v6
	v_cndmask_b32_e32 v15, v13, v12, vcc_lo
	v_cmp_lt_u32_e64 s5, 31, v6
	v_cndmask_b32_e32 v8, v8, v5, vcc_lo
	v_cndmask_b32_e32 v9, v9, v13, vcc_lo
	v_cndmask_b32_e32 v5, v5, v11, vcc_lo
	v_cndmask_b32_e64 v14, 0, 0xffffffe0, s5
	v_cndmask_b32_e64 v12, v8, v15, s4
	;; [unrolled: 1-line block ×5, first 2 shown]
	v_add_nc_u32_e32 v6, v14, v6
	v_cndmask_b32_e64 v8, v8, v12, s5
	v_cndmask_b32_e64 v12, v12, v9, s5
	v_cndmask_b32_e64 v9, v9, v5, s5
	v_sub_nc_u32_e32 v13, 32, v6
	v_cmp_eq_u32_e32 vcc_lo, 0, v6
	v_cndmask_b32_e64 v5, v5, v7, s5
	v_alignbit_b32 v14, v8, v12, v13
	v_alignbit_b32 v11, v12, v9, v13
	v_cndmask_b32_e32 v6, v14, v8, vcc_lo
	v_cndmask_b32_e32 v8, v11, v12, vcc_lo
	v_alignbit_b32 v12, v9, v5, v13
	v_bfe_u32 v10, v6, 29, 1
	v_alignbit_b32 v7, v6, v8, 30
	v_cndmask_b32_e32 v9, v12, v9, vcc_lo
	v_sub_nc_u32_e32 v11, 0, v10
	v_alignbit_b32 v8, v8, v9, 30
	v_alignbit_b32 v5, v9, v5, 30
	v_xor_b32_e32 v7, v7, v11
	v_xor_b32_e32 v8, v8, v11
	;; [unrolled: 1-line block ×3, first 2 shown]
	v_lshrrev_b32_e32 v11, 29, v6
	v_ffbh_u32_e32 v12, v7
	v_lshrrev_b32_e32 v6, 30, v6
	v_min_u32_e32 v12, 32, v12
	v_sub_nc_u32_e32 v9, 31, v12
	v_lshlrev_b32_e32 v13, 23, v12
	v_alignbit_b32 v7, v7, v8, v9
	v_alignbit_b32 v5, v8, v5, v9
	v_lshlrev_b32_e32 v8, 31, v11
	v_alignbit_b32 v9, v7, v5, 9
	v_or_b32_e32 v11, 0.5, v8
	v_lshrrev_b32_e32 v7, 9, v7
	v_or_b32_e32 v8, 0x33000000, v8
	v_ffbh_u32_e32 v14, v9
	v_sub_nc_u32_e32 v11, v11, v13
	v_min_u32_e32 v13, 32, v14
	v_or_b32_e32 v7, v7, v11
	v_not_b32_e32 v11, v13
	v_mul_f32_e32 v14, 0x3fc90fda, v7
	v_add_lshl_u32 v12, v13, v12, 23
	v_alignbit_b32 v5, v9, v5, v11
	v_fma_f32 v9, 0x3fc90fda, v7, -v14
	v_sub_nc_u32_e32 v8, v8, v12
	v_lshrrev_b32_e32 v5, 9, v5
	v_fmamk_f32 v7, v7, 0x33a22168, v9
	v_or_b32_e32 v5, v8, v5
                                        ; implicit-def: $vgpr8
	v_fmac_f32_e32 v7, 0x3fc90fda, v5
	v_add_f32_e32 v5, v14, v7
	v_add_nc_u32_e32 v7, v10, v6
	s_andn2_saveexec_b32 s4, s6
	s_cbranch_execnz .LBB17_121
	s_branch .LBB17_122
.LBB17_120:
	s_andn2_saveexec_b32 s4, s6
.LBB17_121:
	v_rndne_f32_e32 v6, v8
	v_fma_f32 v5, 0xbfc90fda, v6, |v0|
	v_cvt_i32_f32_e32 v7, v6
	v_fmamk_f32 v5, v6, 0xb3a22168, v5
	v_fmamk_f32 v5, v6, 0xa7c234c4, v5
.LBB17_122:
	s_or_b32 exec_lo, exec_lo, s4
	v_div_scale_f32 v6, null, v2, v2, 0x40a00000
	v_div_scale_f32 v10, vcc_lo, 0x40a00000, v2, 0x40a00000
	s_mov_b32 s4, 0xb94c1982
	v_rcp_f32_e32 v8, v6
	v_mul_f32_e32 v17, 0x4f800000, v2
	s_mov_b32 s5, 0x37d75334
	v_and_b32_e32 v12, 1, v7
	v_lshlrev_b32_e32 v7, 30, v7
	v_xor_b32_e32 v1, v1, v0
	v_and_b32_e32 v7, 0x80000000, v7
	v_fma_f32 v9, -v6, v8, 1.0
	v_fmac_f32_e32 v8, v9, v8
	v_mul_f32_e32 v9, v10, v8
	v_fma_f32 v11, -v6, v9, v10
	v_fmac_f32_e32 v9, v11, v8
	v_mul_f32_e32 v11, v5, v5
	v_fma_f32 v6, -v6, v9, v10
	v_fmaak_f32 v20, s4, v11, 0x3c0881c4
	v_fmaak_f32 v21, s5, v11, 0xbab64f3b
	v_div_fmas_f32 v6, v6, v8, v9
	v_mul_f32_e32 v8, v3, v3
	v_fmaak_f32 v21, v11, v21, 0x3d2aabf7
	v_and_b32_e32 v9, 1, v4
	v_fmaak_f32 v20, v11, v20, 0xbe2aaa9d
	v_div_fixup_f32 v6, v6, v2, 0x40a00000
	v_fmaak_f32 v18, s4, v8, 0x3c0881c4
	v_cmp_gt_f32_e64 s4, 0xf800000, v2
	v_fmaak_f32 v19, s5, v8, 0xbab64f3b
	v_fmaak_f32 v21, v11, v21, 0xbf000004
	v_mul_f32_e32 v10, v6, v6
	v_fmaak_f32 v18, v8, v18, 0xbe2aaa9d
	v_cndmask_b32_e64 v2, v2, v17, s4
	v_fmaak_f32 v19, v8, v19, 0x3d2aabf7
	v_mul_f32_e32 v20, v11, v20
	v_fmaak_f32 v13, 0, v10, 0x3d513fd3
	v_fmaak_f32 v14, 0, v10, 0x3a15c4d9
	;; [unrolled: 1-line block ×4, first 2 shown]
	v_mul_f32_e32 v18, v8, v18
	v_fmaak_f32 v13, v10, v13, 0x409f6dae
	v_fmaak_f32 v14, v10, v14, 0x3d8cfeeb
	;; [unrolled: 1-line block ×9, first 2 shown]
	v_fmac_f32_e32 v3, v3, v18
	v_fmaak_f32 v13, v10, v13, 0x43b763ca
	v_fmaak_f32 v14, v10, v14, 0x40a25d18
	;; [unrolled: 1-line block ×4, first 2 shown]
	v_sqrt_f32_e32 v24, v2
	v_fmaak_f32 v13, v10, v13, 0x4431b6ce
	v_fmaak_f32 v14, v10, v14, 0x410665cf
	;; [unrolled: 1-line block ×4, first 2 shown]
	v_fma_f32 v8, v8, v19, 1.0
	v_fmaak_f32 v13, v10, v13, 0x44155f56
	v_fmaak_f32 v14, v10, v14, 0x40a6b6ea
	;; [unrolled: 1-line block ×4, first 2 shown]
	v_fma_f32 v11, v11, v21, 1.0
	v_fmaak_f32 v13, v10, v13, 0x4353b052
	v_fma_f32 v14, v10, v14, 1.0
	v_fma_f32 v15, v10, v15, 1.0
	v_fmaak_f32 v16, v10, v16, 0x43a80bfb
	v_cmp_eq_u32_e64 s6, 0, v9
	v_fmaak_f32 v10, v10, v13, 0x41c9a7fa
	v_lshlrev_b32_e32 v4, 30, v4
	v_div_scale_f32 v13, null, v14, v14, v15
	v_div_scale_f32 v27, vcc_lo, v15, v14, v15
	v_div_scale_f32 v22, null, v16, v16, v10
	v_rcp_f32_e32 v17, v13
	v_fmac_f32_e32 v5, v5, v20
	v_cndmask_b32_e64 v3, -v3, v8, s6
	v_rcp_f32_e32 v23, v22
	v_cmp_eq_u32_e64 s6, 0, v12
	v_and_b32_e32 v4, 0x80000000, v4
	v_add_nc_u32_e32 v20, -1, v24
	v_cndmask_b32_e64 v5, v11, v5, s6
	v_fma_f32 v25, -v13, v17, 1.0
	v_fma_f32 v8, -v20, v24, v2
	v_xor_b32_e32 v3, v4, v3
	v_fma_f32 v26, -v22, v23, 1.0
	v_xor3_b32 v1, v1, v7, v5
	v_fmac_f32_e32 v17, v25, v17
	v_div_scale_f32 v25, s5, v10, v16, v10
	v_fmac_f32_e32 v23, v26, v23
	v_add_nc_u32_e32 v26, 1, v24
	v_mul_f32_e32 v18, v27, v17
	v_mul_f32_e32 v19, v25, v23
	v_fma_f32 v9, -v26, v24, v2
	v_fma_f32 v21, -v13, v18, v27
	;; [unrolled: 1-line block ×3, first 2 shown]
	v_fmac_f32_e32 v18, v21, v17
	v_fmac_f32_e32 v19, v28, v23
	v_fma_f32 v11, -v13, v18, v27
	v_fma_f32 v4, -v22, v19, v25
	v_div_fmas_f32 v11, v11, v17, v18
	s_mov_b32 vcc_lo, s5
	v_cmp_ge_f32_e64 s5, 0, v8
	v_div_fmas_f32 v4, v4, v23, v19
	v_cmp_class_f32_e64 vcc_lo, v0, 0x1f8
	v_cndmask_b32_e64 v0, v24, v20, s5
	v_div_fixup_f32 v4, v4, v16, v10
	v_cmp_lt_f32_e64 s5, 0, v9
	v_cndmask_b32_e32 v1, 0x7fc00000, v1, vcc_lo
	v_cndmask_b32_e32 v3, 0x7fc00000, v3, vcc_lo
	v_cmp_class_f32_e64 vcc_lo, v2, 0x260
	v_mul_f32_e32 v4, v6, v4
	v_cndmask_b32_e64 v0, v0, v26, s5
	v_div_fixup_f32 v6, v11, v14, v15
	v_mul_f32_e32 v1, v4, v1
	v_mul_f32_e32 v5, 0x37800000, v0
	v_fma_f32 v1, v6, v3, -v1
	v_cndmask_b32_e64 v0, v0, v5, s4
	v_mul_f32_e32 v1, 0x3f4c422a, v1
	v_cndmask_b32_e32 v0, v0, v2, vcc_lo
	v_div_scale_f32 v2, null, v0, v0, v1
	v_rcp_f32_e32 v3, v2
	v_fma_f32 v4, -v2, v3, 1.0
	v_fmac_f32_e32 v3, v4, v3
	v_div_scale_f32 v4, vcc_lo, v1, v0, v1
	v_mul_f32_e32 v5, v4, v3
	v_fma_f32 v6, -v2, v5, v4
	v_fmac_f32_e32 v5, v6, v3
	v_fma_f32 v2, -v2, v5, v4
	v_div_fmas_f32 v2, v2, v3, v5
	v_div_fixup_f32 v0, v2, v0, v1
.LBB17_123:
	s_or_b32 exec_lo, exec_lo, s9
                                        ; implicit-def: $vgpr2
.LBB17_124:
	s_andn2_saveexec_b32 s9, s7
	s_cbranch_execz .LBB17_138
; %bb.125:
	s_mov_b32 s4, exec_lo
                                        ; implicit-def: $vgpr0
	v_cmpx_le_f32_e32 0xc0a00000, v2
	s_xor_b32 s4, exec_lo, s4
	s_cbranch_execz .LBB17_127
; %bb.126:
	v_mul_f32_e32 v0, v2, v2
	v_fmaak_f32 v1, 0, v0, 0x441b3589
	v_fmaak_f32 v3, 0, v0, 0xce5691e2
	;; [unrolled: 1-line block ×12, first 2 shown]
	v_div_scale_f32 v1, null, v0, v0, v3
	v_div_scale_f32 v6, vcc_lo, v3, v0, v3
	v_rcp_f32_e32 v4, v1
	v_fma_f32 v5, -v1, v4, 1.0
	v_fmac_f32_e32 v4, v5, v4
	v_mul_f32_e32 v5, v6, v4
	v_fma_f32 v7, -v1, v5, v6
	v_fmac_f32_e32 v5, v7, v4
	v_fma_f32 v1, -v1, v5, v6
	v_div_fmas_f32 v1, v1, v4, v5
	v_div_fixup_f32 v0, v1, v0, v3
	v_fmaak_f32 v1, v2, v2, 0xc16ae95a
	v_mul_f32_e64 v0, v0, -v2
	v_mul_f32_e32 v0, v1, v0
	v_fmaak_f32 v1, v2, v2, 0xc244dfb3
                                        ; implicit-def: $vgpr2
	v_mul_f32_e32 v0, v1, v0
.LBB17_127:
	s_andn2_saveexec_b32 s10, s4
	s_cbranch_execz .LBB17_137
; %bb.128:
	v_sub_f32_e32 v0, 0xc016cbe4, v2
                                        ; implicit-def: $vgpr4
                                        ; implicit-def: $vgpr3
	v_and_b32_e32 v1, 0x7fffffff, v0
	v_cmp_ngt_f32_e64 s6, 0x48000000, |v0|
	v_lshrrev_b32_e32 v6, 23, v1
	s_and_saveexec_b32 s4, s6
	s_xor_b32 s7, exec_lo, s4
	s_cbranch_execz .LBB17_130
; %bb.129:
	s_mov_b32 s4, 0x7fffff
	v_mov_b32_e32 v5, 0
	v_and_or_b32 v13, v1, s4, 0x800000
	v_add_nc_u32_e32 v12, 0xffffff88, v6
	v_mad_u64_u32 v[3:4], null, 0xfe5163ab, v13, 0
	v_cmp_lt_u32_e32 vcc_lo, 63, v12
	v_cndmask_b32_e64 v14, 0, 0xffffffc0, vcc_lo
	v_mad_u64_u32 v[7:8], null, 0x3c439041, v13, v[4:5]
	v_add_nc_u32_e32 v14, v14, v12
	v_mov_b32_e32 v4, v8
	v_cmp_lt_u32_e64 s4, 31, v14
	v_mad_u64_u32 v[8:9], null, 0xdb629599, v13, v[4:5]
	v_cndmask_b32_e64 v15, 0, 0xffffffe0, s4
	v_mov_b32_e32 v4, v9
	v_cndmask_b32_e32 v3, v8, v3, vcc_lo
	v_mad_u64_u32 v[9:10], null, 0xf534ddc0, v13, v[4:5]
	v_mov_b32_e32 v4, v10
	v_cndmask_b32_e32 v7, v9, v7, vcc_lo
	v_mad_u64_u32 v[10:11], null, 0xfc2757d1, v13, v[4:5]
	v_cndmask_b32_e64 v3, v7, v3, s4
	v_mov_b32_e32 v4, v11
	v_mad_u64_u32 v[11:12], null, 0x4e441529, v13, v[4:5]
	v_mov_b32_e32 v4, v12
	v_add_nc_u32_e32 v12, v15, v14
	v_cndmask_b32_e32 v14, v11, v9, vcc_lo
	v_mad_u64_u32 v[4:5], null, 0xa2f9836e, v13, v[4:5]
	v_cmp_lt_u32_e64 s5, 31, v12
	v_cndmask_b32_e64 v13, 0, 0xffffffe0, s5
	v_cndmask_b32_e32 v4, v4, v10, vcc_lo
	v_cndmask_b32_e32 v5, v5, v11, vcc_lo
	;; [unrolled: 1-line block ×3, first 2 shown]
	v_add_nc_u32_e32 v11, v13, v12
	v_cndmask_b32_e64 v9, v4, v14, s4
	v_cndmask_b32_e64 v4, v5, v4, s4
	;; [unrolled: 1-line block ×4, first 2 shown]
	v_sub_nc_u32_e32 v12, 32, v11
	v_cmp_eq_u32_e32 vcc_lo, 0, v11
	v_cndmask_b32_e64 v4, v4, v9, s5
	v_cndmask_b32_e64 v9, v9, v5, s5
	;; [unrolled: 1-line block ×4, first 2 shown]
	v_alignbit_b32 v13, v4, v9, v12
	v_alignbit_b32 v8, v9, v5, v12
	;; [unrolled: 1-line block ×3, first 2 shown]
	v_cndmask_b32_e32 v4, v13, v4, vcc_lo
	v_cndmask_b32_e32 v7, v8, v9, vcc_lo
	;; [unrolled: 1-line block ×3, first 2 shown]
	v_bfe_u32 v8, v4, 29, 1
	v_alignbit_b32 v9, v4, v7, 30
	v_alignbit_b32 v7, v7, v5, 30
	;; [unrolled: 1-line block ×3, first 2 shown]
	v_sub_nc_u32_e32 v10, 0, v8
	v_xor_b32_e32 v9, v9, v10
	v_xor_b32_e32 v5, v7, v10
	;; [unrolled: 1-line block ×3, first 2 shown]
	v_lshrrev_b32_e32 v10, 29, v4
	v_lshrrev_b32_e32 v4, 30, v4
	v_ffbh_u32_e32 v11, v9
	v_add_nc_u32_e32 v4, v8, v4
	v_min_u32_e32 v11, 32, v11
	v_sub_nc_u32_e32 v7, 31, v11
	v_lshlrev_b32_e32 v12, 23, v11
	v_alignbit_b32 v9, v9, v5, v7
	v_alignbit_b32 v3, v5, v3, v7
	v_lshlrev_b32_e32 v5, 31, v10
	v_alignbit_b32 v7, v9, v3, 9
	v_or_b32_e32 v10, 0.5, v5
	v_lshrrev_b32_e32 v9, 9, v9
	v_or_b32_e32 v5, 0x33000000, v5
	v_ffbh_u32_e32 v13, v7
	v_sub_nc_u32_e32 v10, v10, v12
	v_min_u32_e32 v12, 32, v13
	v_or_b32_e32 v9, v9, v10
	v_not_b32_e32 v10, v12
	v_mul_f32_e32 v13, 0x3fc90fda, v9
	v_add_lshl_u32 v11, v12, v11, 23
	v_alignbit_b32 v3, v7, v3, v10
	v_fma_f32 v7, 0x3fc90fda, v9, -v13
	v_sub_nc_u32_e32 v5, v5, v11
	v_lshrrev_b32_e32 v3, 9, v3
	v_fmamk_f32 v7, v9, 0x33a22168, v7
	v_or_b32_e32 v3, v5, v3
	v_fmac_f32_e32 v7, 0x3fc90fda, v3
	v_add_f32_e32 v3, v13, v7
	s_or_saveexec_b32 s4, s7
	v_mul_f32_e64 v8, 0x3f22f983, |v0|
	s_xor_b32 exec_lo, exec_lo, s4
	s_branch .LBB17_131
.LBB17_130:
	s_or_saveexec_b32 s4, s7
	v_mul_f32_e64 v8, 0x3f22f983, |v0|
	s_xor_b32 exec_lo, exec_lo, s4
.LBB17_131:
	v_rndne_f32_e32 v4, v8
	v_fma_f32 v3, 0xbfc90fda, v4, |v0|
	v_fmamk_f32 v3, v4, 0xb3a22168, v3
	v_fmamk_f32 v3, v4, 0xa7c234c4, v3
	v_cvt_i32_f32_e32 v4, v4
; %bb.132:
	s_or_b32 exec_lo, exec_lo, s4
                                        ; implicit-def: $vgpr7
                                        ; implicit-def: $vgpr5
	s_and_saveexec_b32 s4, s6
	s_xor_b32 s6, exec_lo, s4
	s_cbranch_execz .LBB17_134
; %bb.133:
	s_mov_b32 s4, 0x7fffff
	v_mov_b32_e32 v9, 0
	v_and_or_b32 v15, v1, s4, 0x800000
	v_mad_u64_u32 v[7:8], null, 0xfe5163ab, v15, 0
	v_mad_u64_u32 v[10:11], null, 0x3c439041, v15, v[8:9]
	v_mov_b32_e32 v8, v11
	v_mad_u64_u32 v[11:12], null, 0xdb629599, v15, v[8:9]
	v_mov_b32_e32 v8, v12
	v_mad_u64_u32 v[12:13], null, 0xf534ddc0, v15, v[8:9]
	v_mov_b32_e32 v8, v13
	v_add_nc_u32_e32 v13, 0xffffff88, v6
	v_mad_u64_u32 v[5:6], null, 0xfc2757d1, v15, v[8:9]
	v_cmp_lt_u32_e32 vcc_lo, 63, v13
	v_cndmask_b32_e64 v14, 0, 0xffffffc0, vcc_lo
	v_mov_b32_e32 v8, v6
	v_cndmask_b32_e32 v10, v12, v10, vcc_lo
	v_cndmask_b32_e32 v7, v11, v7, vcc_lo
	v_add_nc_u32_e32 v6, v14, v13
	v_mad_u64_u32 v[13:14], null, 0x4e441529, v15, v[8:9]
	v_cmp_lt_u32_e64 s4, 31, v6
	v_mov_b32_e32 v8, v14
	v_cndmask_b32_e64 v16, 0, 0xffffffe0, s4
	v_cndmask_b32_e64 v7, v10, v7, s4
	v_mad_u64_u32 v[8:9], null, 0xa2f9836e, v15, v[8:9]
	v_add_nc_u32_e32 v6, v16, v6
	v_cndmask_b32_e32 v15, v13, v12, vcc_lo
	v_cmp_lt_u32_e64 s5, 31, v6
	v_cndmask_b32_e32 v8, v8, v5, vcc_lo
	v_cndmask_b32_e32 v9, v9, v13, vcc_lo
	;; [unrolled: 1-line block ×3, first 2 shown]
	v_cndmask_b32_e64 v14, 0, 0xffffffe0, s5
	v_cndmask_b32_e64 v12, v8, v15, s4
	;; [unrolled: 1-line block ×5, first 2 shown]
	v_add_nc_u32_e32 v6, v14, v6
	v_cndmask_b32_e64 v8, v8, v12, s5
	v_cndmask_b32_e64 v12, v12, v9, s5
	;; [unrolled: 1-line block ×3, first 2 shown]
	v_sub_nc_u32_e32 v13, 32, v6
	v_cmp_eq_u32_e32 vcc_lo, 0, v6
	v_cndmask_b32_e64 v5, v5, v7, s5
	v_alignbit_b32 v14, v8, v12, v13
	v_alignbit_b32 v11, v12, v9, v13
	v_cndmask_b32_e32 v6, v14, v8, vcc_lo
	v_cndmask_b32_e32 v8, v11, v12, vcc_lo
	v_alignbit_b32 v12, v9, v5, v13
	v_bfe_u32 v10, v6, 29, 1
	v_alignbit_b32 v7, v6, v8, 30
	v_cndmask_b32_e32 v9, v12, v9, vcc_lo
	v_sub_nc_u32_e32 v11, 0, v10
	v_alignbit_b32 v8, v8, v9, 30
	v_alignbit_b32 v5, v9, v5, 30
	v_xor_b32_e32 v7, v7, v11
	v_xor_b32_e32 v8, v8, v11
	v_xor_b32_e32 v5, v5, v11
	v_lshrrev_b32_e32 v11, 29, v6
	v_ffbh_u32_e32 v12, v7
	v_lshrrev_b32_e32 v6, 30, v6
	v_min_u32_e32 v12, 32, v12
	v_sub_nc_u32_e32 v9, 31, v12
	v_lshlrev_b32_e32 v13, 23, v12
	v_alignbit_b32 v7, v7, v8, v9
	v_alignbit_b32 v5, v8, v5, v9
	v_lshlrev_b32_e32 v8, 31, v11
	v_alignbit_b32 v9, v7, v5, 9
	v_or_b32_e32 v11, 0.5, v8
	v_lshrrev_b32_e32 v7, 9, v7
	v_or_b32_e32 v8, 0x33000000, v8
	v_ffbh_u32_e32 v14, v9
	v_sub_nc_u32_e32 v11, v11, v13
	v_min_u32_e32 v13, 32, v14
	v_or_b32_e32 v7, v7, v11
	v_not_b32_e32 v11, v13
	v_mul_f32_e32 v14, 0x3fc90fda, v7
	v_add_lshl_u32 v12, v13, v12, 23
	v_alignbit_b32 v5, v9, v5, v11
	v_fma_f32 v9, 0x3fc90fda, v7, -v14
	v_sub_nc_u32_e32 v8, v8, v12
	v_lshrrev_b32_e32 v5, 9, v5
	v_fmamk_f32 v7, v7, 0x33a22168, v9
	v_or_b32_e32 v5, v8, v5
                                        ; implicit-def: $vgpr8
	v_fmac_f32_e32 v7, 0x3fc90fda, v5
	v_add_f32_e32 v5, v14, v7
	v_add_nc_u32_e32 v7, v10, v6
	s_andn2_saveexec_b32 s4, s6
	s_cbranch_execnz .LBB17_135
	s_branch .LBB17_136
.LBB17_134:
	s_andn2_saveexec_b32 s4, s6
.LBB17_135:
	v_rndne_f32_e32 v6, v8
	v_fma_f32 v5, 0xbfc90fda, v6, |v0|
	v_cvt_i32_f32_e32 v7, v6
	v_fmamk_f32 v5, v6, 0xb3a22168, v5
	v_fmamk_f32 v5, v6, 0xa7c234c4, v5
.LBB17_136:
	s_or_b32 exec_lo, exec_lo, s4
	v_div_scale_f32 v6, null, v2, v2, 0xc0a00000
	v_div_scale_f32 v10, vcc_lo, 0xc0a00000, v2, 0xc0a00000
	v_mul_f32_e32 v12, v3, v3
	v_rcp_f32_e32 v8, v6
	s_mov_b32 s5, 0xb94c1982
	s_mov_b32 s6, 0x37d75334
	v_div_scale_f32 v13, null, v2, v2, 0x40a00000
	v_fmaak_f32 v15, s5, v12, 0x3c0881c4
	v_fmaak_f32 v16, s6, v12, 0xbab64f3b
	v_mul_f32_e32 v14, 0xcf800000, v2
	v_rcp_f32_e32 v17, v13
	v_xor_b32_e32 v1, v1, v0
	v_fma_f32 v9, -v6, v8, 1.0
	v_fmaak_f32 v15, v12, v15, 0xbe2aaa9d
	v_fmaak_f32 v16, v12, v16, 0x3d2aabf7
	v_fmac_f32_e32 v8, v9, v8
	v_mul_f32_e32 v15, v12, v15
	v_fmaak_f32 v16, v12, v16, 0xbf000004
	v_mul_f32_e32 v9, v10, v8
	v_fmac_f32_e32 v3, v3, v15
	v_fma_f32 v12, v12, v16, 1.0
	v_fma_f32 v11, -v6, v9, v10
	v_fmac_f32_e32 v9, v11, v8
	v_and_b32_e32 v11, 1, v4
	v_lshlrev_b32_e32 v4, 30, v4
	v_fma_f32 v6, -v6, v9, v10
	v_div_scale_f32 v10, s4, 0x40a00000, v2, 0x40a00000
	v_and_b32_e32 v4, 0x80000000, v4
	v_div_fmas_f32 v6, v6, v8, v9
	v_mul_f32_e32 v8, v5, v5
	v_and_b32_e32 v9, 1, v7
	v_lshlrev_b32_e32 v7, 30, v7
	v_div_fixup_f32 v6, v6, v2, 0xc0a00000
	v_fmaak_f32 v18, s5, v8, 0x3c0881c4
	v_fmaak_f32 v19, s6, v8, 0xbab64f3b
	v_cmp_lt_f32_e64 s5, 0x8f800000, v2
	v_cmp_eq_u32_e64 s6, 0, v11
	v_mul_f32_e32 v6, v6, v6
	v_fmaak_f32 v18, v8, v18, 0xbe2aaa9d
	v_fmaak_f32 v19, v8, v19, 0x3d2aabf7
	v_cndmask_b32_e64 v14, -v2, v14, s5
	v_cndmask_b32_e64 v3, -v3, v12, s6
	v_fmaak_f32 v20, 0, v6, 0x3a15c4d9
	v_fmaak_f32 v21, 0, v6, 0x3a47c962
	;; [unrolled: 1-line block ×4, first 2 shown]
	v_mul_f32_e32 v18, v8, v18
	v_fmaak_f32 v20, v6, v20, 0x3d8cfeeb
	v_fmaak_f32 v21, v6, v21, 0x3d95ca45
	;; [unrolled: 1-line block ×9, first 2 shown]
	v_fmac_f32_e32 v5, v5, v18
	v_fmaak_f32 v20, v6, v20, 0x40a25d18
	v_fmaak_f32 v21, v6, v21, 0x40a39628
	;; [unrolled: 1-line block ×4, first 2 shown]
	v_fma_f32 v8, v8, v19, 1.0
	v_fmaak_f32 v20, v6, v20, 0x410665cf
	v_fmaak_f32 v21, v6, v21, 0x4106c8e4
	;; [unrolled: 1-line block ×4, first 2 shown]
	v_cmp_eq_u32_e64 s7, 0, v9
	v_fmaak_f32 v20, v6, v20, 0x40a6b6ea
	v_fmaak_f32 v21, v6, v21, 0x40a6dd51
	;; [unrolled: 1-line block ×4, first 2 shown]
	v_sqrt_f32_e32 v24, v14
	v_fma_f32 v20, v6, v20, 1.0
	v_fma_f32 v21, v6, v21, 1.0
	v_fmaak_f32 v22, v6, v22, 0x4353b052
	v_fmaak_f32 v23, v6, v23, 0x43a80bfb
	v_cndmask_b32_e64 v5, v8, v5, s7
	v_cmp_class_f32_e64 s7, v0, 0x1f8
	v_div_scale_f32 v25, null, v20, v20, v21
	v_fmaak_f32 v6, v6, v22, 0x41c9a7fa
	v_fma_f32 v22, -v13, v17, 1.0
	v_add_nc_u32_e32 v18, -1, v24
	v_rcp_f32_e32 v26, v25
	v_xor_b32_e32 v3, v4, v3
	v_div_scale_f32 v27, null, v23, v23, v6
	v_fmac_f32_e32 v17, v22, v17
	v_div_scale_f32 v22, vcc_lo, v21, v20, v21
	v_rcp_f32_e32 v15, v27
	v_div_scale_f32 v11, s6, v6, v23, v6
	v_fma_f32 v16, -v25, v26, 1.0
	v_add_nc_u32_e32 v19, 1, v24
	v_fma_f32 v29, -v18, v24, v14
	v_and_b32_e32 v7, 0x80000000, v7
	v_cndmask_b32_e64 v3, 0x7fc00000, v3, s7
	v_fmac_f32_e32 v26, v16, v26
	v_fma_f32 v30, -v19, v24, v14
	v_fma_f32 v16, -v27, v15, 1.0
	v_xor3_b32 v1, v1, v7, v5
	v_mul_f32_e32 v12, v22, v26
	v_fmac_f32_e32 v15, v16, v15
	v_mul_f32_e32 v16, v10, v17
	v_cndmask_b32_e64 v1, 0x7fc00000, v1, s7
	v_fma_f32 v8, -v25, v12, v22
	v_mul_f32_e32 v9, v11, v15
	v_fma_f32 v28, -v13, v16, v10
	v_fmac_f32_e32 v12, v8, v26
	v_fma_f32 v8, -v27, v9, v11
	v_fmac_f32_e32 v16, v28, v17
	;; [unrolled: 2-line block ×3, first 2 shown]
	v_fma_f32 v4, -v13, v16, v10
	v_div_fmas_f32 v0, v0, v26, v12
	s_mov_b32 vcc_lo, s4
	v_fma_f32 v8, -v27, v9, v11
	v_div_fmas_f32 v4, v4, v17, v16
	s_mov_b32 vcc_lo, s6
	v_div_fixup_f32 v0, v0, v20, v21
	v_div_fmas_f32 v8, v8, v15, v9
	v_cmp_ge_f32_e32 vcc_lo, 0, v29
	v_div_fixup_f32 v2, v4, v2, 0x40a00000
	v_div_fixup_f32 v4, v8, v23, v6
	v_cndmask_b32_e32 v5, v24, v18, vcc_lo
	v_cmp_lt_f32_e32 vcc_lo, 0, v30
	v_mul_f32_e32 v2, v2, v4
	v_cndmask_b32_e32 v5, v5, v19, vcc_lo
	v_cmp_class_f32_e64 vcc_lo, v14, 0x260
	v_mul_f32_e32 v1, v2, v1
	v_mul_f32_e32 v4, 0x37800000, v5
	v_fmac_f32_e32 v1, v0, v3
	v_cndmask_b32_e64 v2, v5, v4, s5
	v_mul_f32_e32 v1, 0x3f4c422a, v1
	v_cndmask_b32_e32 v0, v2, v14, vcc_lo
	v_div_scale_f32 v2, null, v0, v0, v1
	v_rcp_f32_e32 v3, v2
	v_fma_f32 v4, -v2, v3, 1.0
	v_fmac_f32_e32 v3, v4, v3
	v_div_scale_f32 v4, vcc_lo, v1, v0, v1
	v_mul_f32_e32 v5, v4, v3
	v_fma_f32 v6, -v2, v5, v4
	v_fmac_f32_e32 v5, v6, v3
	v_fma_f32 v2, -v2, v5, v4
	v_div_fmas_f32 v2, v2, v3, v5
	v_div_fixup_f32 v0, v2, v0, v1
.LBB17_137:
	s_or_b32 exec_lo, exec_lo, s10
	v_xor_b32_e32 v0, 0x80000000, v0
.LBB17_138:
	s_or_b32 exec_lo, exec_lo, s9
	s_or_b32 exec_lo, exec_lo, s8
	s_setpc_b64 s[30:31]
.LBB17_139:
	s_or_saveexec_b32 s12, s12
	v_mov_b32_e32 v2, 0x7f800001
	s_xor_b32 exec_lo, exec_lo, s12
	s_cbranch_execz .LBB17_30
.LBB17_140:
	v_cmp_ne_u16_e32 vcc_lo, 0, v3
	v_mov_b32_e32 v2, 0
	s_andn2_b32 s11, s11, exec_lo
	s_and_b32 s13, vcc_lo, exec_lo
	s_or_b32 s11, s11, s13
	s_or_b32 exec_lo, exec_lo, s12
	s_and_saveexec_b32 s12, s11
	s_cbranch_execnz .LBB17_31
	s_branch .LBB17_32
.LBB17_141:
	s_or_saveexec_b32 s12, s12
	v_mov_b32_e32 v2, 0x7f800001
	s_xor_b32 exec_lo, exec_lo, s12
	s_cbranch_execz .LBB17_97
.LBB17_142:
	v_cmp_ne_u16_e32 vcc_lo, 0, v3
	v_mov_b32_e32 v2, 0
	s_andn2_b32 s11, s11, exec_lo
	s_and_b32 s13, vcc_lo, exec_lo
	s_or_b32 s11, s11, s13
	s_or_b32 exec_lo, exec_lo, s12
	s_and_saveexec_b32 s12, s11
	s_cbranch_execnz .LBB17_98
	s_branch .LBB17_99
.Lfunc_end17:
	.size	_ZN2at6native6invokeIZZZNS0_12_GLOBAL__N_121bessel_j1_kernel_cudaERNS_18TensorIteratorBaseEENKUlvE_clEvENKUlvE0_clEvEUlfE_i15function_traitsIS7_EEENT1_11result_typeERKT_PrKPcPKT0_PKN3c1010ScalarTypeEi, .Lfunc_end17-_ZN2at6native6invokeIZZZNS0_12_GLOBAL__N_121bessel_j1_kernel_cudaERNS_18TensorIteratorBaseEENKUlvE_clEvENKUlvE0_clEvEUlfE_i15function_traitsIS7_EEENT1_11result_typeERKT_PrKPcPKT0_PKN3c1010ScalarTypeEi
                                        ; -- End function
	.set .L_ZN2at6native6invokeIZZZNS0_12_GLOBAL__N_121bessel_j1_kernel_cudaERNS_18TensorIteratorBaseEENKUlvE_clEvENKUlvE0_clEvEUlfE_i15function_traitsIS7_EEENT1_11result_typeERKT_PrKPcPKT0_PKN3c1010ScalarTypeEi.num_vgpr, 31
	.set .L_ZN2at6native6invokeIZZZNS0_12_GLOBAL__N_121bessel_j1_kernel_cudaERNS_18TensorIteratorBaseEENKUlvE_clEvENKUlvE0_clEvEUlfE_i15function_traitsIS7_EEENT1_11result_typeERKT_PrKPcPKT0_PKN3c1010ScalarTypeEi.num_agpr, 0
	.set .L_ZN2at6native6invokeIZZZNS0_12_GLOBAL__N_121bessel_j1_kernel_cudaERNS_18TensorIteratorBaseEENKUlvE_clEvENKUlvE0_clEvEUlfE_i15function_traitsIS7_EEENT1_11result_typeERKT_PrKPcPKT0_PKN3c1010ScalarTypeEi.numbered_sgpr, 32
	.set .L_ZN2at6native6invokeIZZZNS0_12_GLOBAL__N_121bessel_j1_kernel_cudaERNS_18TensorIteratorBaseEENKUlvE_clEvENKUlvE0_clEvEUlfE_i15function_traitsIS7_EEENT1_11result_typeERKT_PrKPcPKT0_PKN3c1010ScalarTypeEi.num_named_barrier, 0
	.set .L_ZN2at6native6invokeIZZZNS0_12_GLOBAL__N_121bessel_j1_kernel_cudaERNS_18TensorIteratorBaseEENKUlvE_clEvENKUlvE0_clEvEUlfE_i15function_traitsIS7_EEENT1_11result_typeERKT_PrKPcPKT0_PKN3c1010ScalarTypeEi.private_seg_size, 0
	.set .L_ZN2at6native6invokeIZZZNS0_12_GLOBAL__N_121bessel_j1_kernel_cudaERNS_18TensorIteratorBaseEENKUlvE_clEvENKUlvE0_clEvEUlfE_i15function_traitsIS7_EEENT1_11result_typeERKT_PrKPcPKT0_PKN3c1010ScalarTypeEi.uses_vcc, 1
	.set .L_ZN2at6native6invokeIZZZNS0_12_GLOBAL__N_121bessel_j1_kernel_cudaERNS_18TensorIteratorBaseEENKUlvE_clEvENKUlvE0_clEvEUlfE_i15function_traitsIS7_EEENT1_11result_typeERKT_PrKPcPKT0_PKN3c1010ScalarTypeEi.uses_flat_scratch, 0
	.set .L_ZN2at6native6invokeIZZZNS0_12_GLOBAL__N_121bessel_j1_kernel_cudaERNS_18TensorIteratorBaseEENKUlvE_clEvENKUlvE0_clEvEUlfE_i15function_traitsIS7_EEENT1_11result_typeERKT_PrKPcPKT0_PKN3c1010ScalarTypeEi.has_dyn_sized_stack, 0
	.set .L_ZN2at6native6invokeIZZZNS0_12_GLOBAL__N_121bessel_j1_kernel_cudaERNS_18TensorIteratorBaseEENKUlvE_clEvENKUlvE0_clEvEUlfE_i15function_traitsIS7_EEENT1_11result_typeERKT_PrKPcPKT0_PKN3c1010ScalarTypeEi.has_recursion, 0
	.set .L_ZN2at6native6invokeIZZZNS0_12_GLOBAL__N_121bessel_j1_kernel_cudaERNS_18TensorIteratorBaseEENKUlvE_clEvENKUlvE0_clEvEUlfE_i15function_traitsIS7_EEENT1_11result_typeERKT_PrKPcPKT0_PKN3c1010ScalarTypeEi.has_indirect_call, 0
	.section	.AMDGPU.csdata,"",@progbits
; Function info:
; codeLenInByte = 7472
; TotalNumSgprs: 34
; NumVgprs: 31
; ScratchSize: 0
; MemoryBound: 1
	.section	.text._ZN2at6native32elementwise_kernel_manual_unrollILi128ELi4EZNS0_15gpu_kernel_implIZZZNS0_12_GLOBAL__N_121bessel_j1_kernel_cudaERNS_18TensorIteratorBaseEENKUlvE_clEvENKUlvE0_clEvEUlfE_EEvS5_RKT_EUlibE_EEviT1_,"axG",@progbits,_ZN2at6native32elementwise_kernel_manual_unrollILi128ELi4EZNS0_15gpu_kernel_implIZZZNS0_12_GLOBAL__N_121bessel_j1_kernel_cudaERNS_18TensorIteratorBaseEENKUlvE_clEvENKUlvE0_clEvEUlfE_EEvS5_RKT_EUlibE_EEviT1_,comdat
	.globl	_ZN2at6native32elementwise_kernel_manual_unrollILi128ELi4EZNS0_15gpu_kernel_implIZZZNS0_12_GLOBAL__N_121bessel_j1_kernel_cudaERNS_18TensorIteratorBaseEENKUlvE_clEvENKUlvE0_clEvEUlfE_EEvS5_RKT_EUlibE_EEviT1_ ; -- Begin function _ZN2at6native32elementwise_kernel_manual_unrollILi128ELi4EZNS0_15gpu_kernel_implIZZZNS0_12_GLOBAL__N_121bessel_j1_kernel_cudaERNS_18TensorIteratorBaseEENKUlvE_clEvENKUlvE0_clEvEUlfE_EEvS5_RKT_EUlibE_EEviT1_
	.p2align	8
	.type	_ZN2at6native32elementwise_kernel_manual_unrollILi128ELi4EZNS0_15gpu_kernel_implIZZZNS0_12_GLOBAL__N_121bessel_j1_kernel_cudaERNS_18TensorIteratorBaseEENKUlvE_clEvENKUlvE0_clEvEUlfE_EEvS5_RKT_EUlibE_EEviT1_,@function
_ZN2at6native32elementwise_kernel_manual_unrollILi128ELi4EZNS0_15gpu_kernel_implIZZZNS0_12_GLOBAL__N_121bessel_j1_kernel_cudaERNS_18TensorIteratorBaseEENKUlvE_clEvENKUlvE0_clEvEUlfE_EEvS5_RKT_EUlibE_EEviT1_: ; @_ZN2at6native32elementwise_kernel_manual_unrollILi128ELi4EZNS0_15gpu_kernel_implIZZZNS0_12_GLOBAL__N_121bessel_j1_kernel_cudaERNS_18TensorIteratorBaseEENKUlvE_clEvENKUlvE0_clEvEUlfE_EEvS5_RKT_EUlibE_EEviT1_
; %bb.0:
	v_mov_b32_e32 v1, 0
	s_clause 0x2
	s_load_dword s26, s[4:5], 0x0
	s_load_dwordx2 s[20:21], s[4:5], 0x18
	s_load_dwordx4 s[16:19], s[4:5], 0x8
	v_lshl_or_b32 v34, s6, 9, v0
	v_mov_b32_e32 v0, 8
	s_add_u32 s0, s0, s7
	global_load_ushort v1, v1, s[4:5] offset:33
	s_addc_u32 s1, s1, 0
	v_or_b32_e32 v36, 0x180, v34
	s_mov_b32 s23, 0
	s_mov_b32 s25, 0
	;; [unrolled: 1-line block ×3, first 2 shown]
	s_mov_b32 s4, exec_lo
	s_waitcnt vmcnt(0)
	v_readfirstlane_b32 s22, v1
	v_lshrrev_b32_sdwa v35, v0, v1 dst_sel:DWORD dst_unused:UNUSED_PAD src0_sel:DWORD src1_sel:WORD_0
	s_waitcnt lgkmcnt(0)
	v_cmpx_le_i32_e64 s26, v36
	s_xor_b32 s24, exec_lo, s4
	s_cbranch_execz .LBB18_512
; %bb.1:
	s_mov_b32 s4, -1
	s_mov_b32 s28, 0
	s_mov_b32 s27, exec_lo
	v_cmpx_gt_i32_e64 s26, v34
	s_cbranch_execz .LBB18_124
; %bb.2:
	v_mov_b32_e32 v0, s18
	v_mov_b32_e32 v1, s19
	;; [unrolled: 1-line block ×5, first 2 shown]
	s_getpc_b64 s[4:5]
	s_add_u32 s4, s4, _ZN2at6native6invokeIZZZNS0_12_GLOBAL__N_121bessel_j1_kernel_cudaERNS_18TensorIteratorBaseEENKUlvE_clEvENKUlvE0_clEvEUlfE_i15function_traitsIS7_EEENT1_11result_typeERKT_PrKPcPKT0_PKN3c1010ScalarTypeEi@rel32@lo+4
	s_addc_u32 s5, s5, _ZN2at6native6invokeIZZZNS0_12_GLOBAL__N_121bessel_j1_kernel_cudaERNS_18TensorIteratorBaseEENKUlvE_clEvENKUlvE0_clEvEUlfE_i15function_traitsIS7_EEENT1_11result_typeERKT_PrKPcPKT0_PKN3c1010ScalarTypeEi@rel32@hi+12
	s_swappc_b64 s[30:31], s[4:5]
	v_mul_lo_u32 v1, v34, s20
	s_and_b32 s5, s22, 0xff
	s_cmp_lt_i32 s5, 11
	v_ashrrev_i32_e32 v3, 31, v1
	v_add_co_u32 v2, vcc_lo, s16, v1
	v_add_co_ci_u32_e64 v3, null, s17, v3, vcc_lo
	s_cbranch_scc1 .LBB18_9
; %bb.3:
	s_and_b32 s6, 0xffff, s5
	s_cmp_gt_i32 s6, 25
	s_cbranch_scc0 .LBB18_12
; %bb.4:
	s_cmp_gt_i32 s6, 28
	s_cbranch_scc0 .LBB18_13
; %bb.5:
	;; [unrolled: 3-line block ×4, first 2 shown]
	s_mov_b32 s8, 0
	s_mov_b32 s4, -1
	s_cmp_eq_u32 s6, 46
	s_mov_b32 s7, 0
	s_cbranch_scc0 .LBB18_16
; %bb.8:
	v_bfe_u32 v1, v0, 16, 1
	v_cmp_o_f32_e32 vcc_lo, v0, v0
	v_mov_b32_e32 v4, 0x7fc0
	s_mov_b32 s7, -1
	s_mov_b32 s4, 0
	v_add3_u32 v1, v0, v1, 0x7fff
	v_cndmask_b32_sdwa v1, v4, v1, vcc_lo dst_sel:DWORD dst_unused:UNUSED_PAD src0_sel:DWORD src1_sel:WORD_1
	global_store_dword v[2:3], v1, off
	s_branch .LBB18_16
.LBB18_9:
	s_mov_b32 s4, 0
	s_mov_b32 s7, 0
	s_cbranch_execnz .LBB18_84
.LBB18_10:
	s_andn2_b32 vcc_lo, exec_lo, s7
	s_cbranch_vccnz .LBB18_122
.LBB18_11:
	v_add_nc_u32_e32 v34, 0x80, v34
	s_mov_b32 s5, -1
	s_branch .LBB18_123
.LBB18_12:
	s_mov_b32 s4, 0
	s_mov_b32 s7, 0
	s_cbranch_execnz .LBB18_43
	s_branch .LBB18_83
.LBB18_13:
	s_mov_b32 s8, -1
	s_mov_b32 s4, 0
	s_mov_b32 s7, 0
	s_branch .LBB18_26
.LBB18_14:
	s_mov_b32 s8, -1
	s_mov_b32 s4, 0
	s_mov_b32 s7, 0
	s_branch .LBB18_22
.LBB18_15:
	s_mov_b32 s8, -1
	s_mov_b32 s4, 0
	s_mov_b32 s7, 0
.LBB18_16:
	s_and_b32 vcc_lo, exec_lo, s8
	s_cbranch_vccz .LBB18_21
; %bb.17:
	s_cmp_eq_u32 s6, 44
	s_mov_b32 s4, -1
	s_cbranch_scc0 .LBB18_21
; %bb.18:
	v_bfe_u32 v4, v0, 23, 8
	v_mov_b32_e32 v1, 0xff
	s_mov_b32 s7, exec_lo
	v_cmpx_ne_u32_e32 0xff, v4
	s_cbranch_execz .LBB18_20
; %bb.19:
	v_and_b32_e32 v1, 0x400000, v0
	v_and_or_b32 v4, 0x3fffff, v0, v4
	v_cmp_ne_u32_e32 vcc_lo, 0, v1
	v_cmp_ne_u32_e64 s4, 0, v4
	v_lshrrev_b32_e32 v1, 23, v0
	s_and_b32 s4, vcc_lo, s4
	v_cndmask_b32_e64 v4, 0, 1, s4
	v_add_nc_u32_e32 v1, v1, v4
.LBB18_20:
	s_or_b32 exec_lo, exec_lo, s7
	s_mov_b32 s7, -1
	s_mov_b32 s4, 0
	global_store_byte v[2:3], v1, off
.LBB18_21:
	s_mov_b32 s8, 0
.LBB18_22:
	s_and_b32 vcc_lo, exec_lo, s8
	s_cbranch_vccz .LBB18_25
; %bb.23:
	s_cmp_eq_u32 s6, 29
	s_mov_b32 s4, -1
	s_cbranch_scc0 .LBB18_25
; %bb.24:
	v_trunc_f32_e32 v1, v0
	s_mov_b32 s7, -1
	s_mov_b32 s4, 0
	s_mov_b32 s8, 0
	v_mul_f32_e32 v4, 0x2f800000, v1
	v_floor_f32_e32 v4, v4
	v_fmamk_f32 v1, v4, 0xcf800000, v1
	v_cvt_u32_f32_e32 v5, v4
	v_cvt_u32_f32_e32 v4, v1
	global_store_dwordx2 v[2:3], v[4:5], off
	s_branch .LBB18_26
.LBB18_25:
	s_mov_b32 s8, 0
.LBB18_26:
	s_and_b32 vcc_lo, exec_lo, s8
	s_cbranch_vccz .LBB18_42
; %bb.27:
	s_cmp_lt_i32 s6, 27
	s_mov_b32 s7, -1
	s_cbranch_scc1 .LBB18_33
; %bb.28:
	v_cvt_u32_f32_e32 v1, v0
	s_cmp_gt_i32 s6, 27
	s_cbranch_scc0 .LBB18_30
; %bb.29:
	s_mov_b32 s7, 0
	global_store_dword v[2:3], v1, off
.LBB18_30:
	s_andn2_b32 vcc_lo, exec_lo, s7
	s_cbranch_vccnz .LBB18_32
; %bb.31:
	global_store_short v[2:3], v1, off
.LBB18_32:
	s_mov_b32 s7, 0
.LBB18_33:
	s_andn2_b32 vcc_lo, exec_lo, s7
	s_cbranch_vccnz .LBB18_41
; %bb.34:
	v_and_b32_e32 v1, 0x7fffffff, v0
	v_mov_b32_e32 v4, 0x80
	s_mov_b32 s7, exec_lo
	v_cmpx_gt_u32_e32 0x43800000, v1
	s_cbranch_execz .LBB18_40
; %bb.35:
	v_cmp_lt_u32_e32 vcc_lo, 0x3bffffff, v1
	s_mov_b32 s8, 0
                                        ; implicit-def: $vgpr1
	s_and_saveexec_b32 s9, vcc_lo
	s_xor_b32 s9, exec_lo, s9
	s_cbranch_execz .LBB18_141
; %bb.36:
	v_bfe_u32 v1, v0, 20, 1
	s_mov_b32 s8, exec_lo
	v_add3_u32 v1, v0, v1, 0x487ffff
	v_lshrrev_b32_e32 v1, 20, v1
	s_andn2_saveexec_b32 s9, s9
	s_cbranch_execnz .LBB18_142
.LBB18_37:
	s_or_b32 exec_lo, exec_lo, s9
	v_mov_b32_e32 v4, 0
	s_and_saveexec_b32 s9, s8
.LBB18_38:
	v_lshrrev_b32_e32 v4, 24, v0
	v_and_or_b32 v4, 0x80, v4, v1
.LBB18_39:
	s_or_b32 exec_lo, exec_lo, s9
.LBB18_40:
	s_or_b32 exec_lo, exec_lo, s7
	global_store_byte v[2:3], v4, off
.LBB18_41:
	s_mov_b32 s7, -1
.LBB18_42:
	s_branch .LBB18_83
.LBB18_43:
	s_cmp_gt_i32 s6, 22
	s_mov_b32 s8, -1
	s_cbranch_scc0 .LBB18_75
; %bb.44:
	s_cmp_lt_i32 s6, 24
	s_mov_b32 s7, -1
	s_cbranch_scc1 .LBB18_64
; %bb.45:
	s_cmp_gt_i32 s6, 24
	s_cbranch_scc0 .LBB18_53
; %bb.46:
	v_and_b32_e32 v1, 0x7fffffff, v0
	v_mov_b32_e32 v4, 0x80
	s_mov_b32 s7, exec_lo
	v_cmpx_gt_u32_e32 0x47800000, v1
	s_cbranch_execz .LBB18_52
; %bb.47:
	v_cmp_lt_u32_e32 vcc_lo, 0x37ffffff, v1
	s_mov_b32 s8, 0
                                        ; implicit-def: $vgpr1
	s_and_saveexec_b32 s9, vcc_lo
	s_xor_b32 s9, exec_lo, s9
	s_cbranch_execz .LBB18_144
; %bb.48:
	v_bfe_u32 v1, v0, 21, 1
	s_mov_b32 s8, exec_lo
	v_add3_u32 v1, v0, v1, 0x88fffff
	v_lshrrev_b32_e32 v1, 21, v1
	s_andn2_saveexec_b32 s9, s9
	s_cbranch_execnz .LBB18_145
.LBB18_49:
	s_or_b32 exec_lo, exec_lo, s9
	v_mov_b32_e32 v4, 0
	s_and_saveexec_b32 s9, s8
.LBB18_50:
	v_lshrrev_b32_e32 v4, 24, v0
	v_and_or_b32 v4, 0x80, v4, v1
.LBB18_51:
	s_or_b32 exec_lo, exec_lo, s9
.LBB18_52:
	s_or_b32 exec_lo, exec_lo, s7
	s_mov_b32 s7, 0
	global_store_byte v[2:3], v4, off
.LBB18_53:
	s_and_b32 vcc_lo, exec_lo, s7
	s_cbranch_vccz .LBB18_63
; %bb.54:
	v_and_b32_e32 v4, 0x7fffffff, v0
	s_mov_b32 s7, exec_lo
                                        ; implicit-def: $vgpr1
	v_cmpx_gt_u32_e32 0x43f00000, v4
	s_xor_b32 s7, exec_lo, s7
	s_cbranch_execz .LBB18_60
; %bb.55:
	s_mov_b32 s8, exec_lo
                                        ; implicit-def: $vgpr1
	v_cmpx_lt_u32_e32 0x3c7fffff, v4
	s_xor_b32 s8, exec_lo, s8
; %bb.56:
	v_bfe_u32 v1, v0, 20, 1
	v_add3_u32 v1, v0, v1, 0x407ffff
	v_and_b32_e32 v4, 0xff00000, v1
	v_lshrrev_b32_e32 v1, 20, v1
	v_cmp_ne_u32_e32 vcc_lo, 0x7f00000, v4
	v_cndmask_b32_e32 v1, 0x7e, v1, vcc_lo
; %bb.57:
	s_andn2_saveexec_b32 s8, s8
; %bb.58:
	v_add_f32_e64 v1, 0x46800000, |v0|
; %bb.59:
	s_or_b32 exec_lo, exec_lo, s8
                                        ; implicit-def: $vgpr4
.LBB18_60:
	s_andn2_saveexec_b32 s7, s7
; %bb.61:
	v_mov_b32_e32 v1, 0x7f
	v_cmp_lt_u32_e32 vcc_lo, 0x7f800000, v4
	v_cndmask_b32_e32 v1, 0x7e, v1, vcc_lo
; %bb.62:
	s_or_b32 exec_lo, exec_lo, s7
	v_lshrrev_b32_e32 v4, 24, v0
	v_and_or_b32 v1, 0x80, v4, v1
	global_store_byte v[2:3], v1, off
.LBB18_63:
	s_mov_b32 s7, 0
.LBB18_64:
	s_andn2_b32 vcc_lo, exec_lo, s7
	s_cbranch_vccnz .LBB18_74
; %bb.65:
	v_and_b32_e32 v4, 0x7fffffff, v0
	s_mov_b32 s7, exec_lo
                                        ; implicit-def: $vgpr1
	v_cmpx_gt_u32_e32 0x47800000, v4
	s_xor_b32 s7, exec_lo, s7
	s_cbranch_execz .LBB18_71
; %bb.66:
	s_mov_b32 s8, exec_lo
                                        ; implicit-def: $vgpr1
	v_cmpx_lt_u32_e32 0x387fffff, v4
	s_xor_b32 s8, exec_lo, s8
; %bb.67:
	v_bfe_u32 v1, v0, 21, 1
	v_add3_u32 v1, v0, v1, 0x80fffff
	v_lshrrev_b32_e32 v1, 21, v1
; %bb.68:
	s_andn2_saveexec_b32 s8, s8
; %bb.69:
	v_add_f32_e64 v1, 0x43000000, |v0|
; %bb.70:
	s_or_b32 exec_lo, exec_lo, s8
                                        ; implicit-def: $vgpr4
.LBB18_71:
	s_andn2_saveexec_b32 s7, s7
; %bb.72:
	v_mov_b32_e32 v1, 0x7f
	v_cmp_lt_u32_e32 vcc_lo, 0x7f800000, v4
	v_cndmask_b32_e32 v1, 0x7c, v1, vcc_lo
; %bb.73:
	s_or_b32 exec_lo, exec_lo, s7
	v_lshrrev_b32_e32 v4, 24, v0
	v_and_or_b32 v1, 0x80, v4, v1
	global_store_byte v[2:3], v1, off
.LBB18_74:
	s_mov_b32 s8, 0
	s_mov_b32 s7, -1
.LBB18_75:
	s_andn2_b32 vcc_lo, exec_lo, s8
	s_cbranch_vccnz .LBB18_83
; %bb.76:
	s_cmp_gt_i32 s6, 14
	s_mov_b32 s8, -1
	s_cbranch_scc0 .LBB18_80
; %bb.77:
	s_cmp_eq_u32 s6, 15
	s_mov_b32 s4, -1
	s_cbranch_scc0 .LBB18_79
; %bb.78:
	v_bfe_u32 v1, v0, 16, 1
	v_cmp_o_f32_e32 vcc_lo, v0, v0
	v_mov_b32_e32 v4, 0x7fc0
	s_mov_b32 s7, -1
	s_mov_b32 s4, 0
	v_add3_u32 v1, v0, v1, 0x7fff
	v_cndmask_b32_sdwa v1, v4, v1, vcc_lo dst_sel:DWORD dst_unused:UNUSED_PAD src0_sel:DWORD src1_sel:WORD_1
	global_store_short v[2:3], v1, off
.LBB18_79:
	s_mov_b32 s8, 0
.LBB18_80:
	s_and_b32 vcc_lo, exec_lo, s8
	s_cbranch_vccz .LBB18_83
; %bb.81:
	s_cmp_eq_u32 s6, 11
	s_mov_b32 s4, -1
	s_cbranch_scc0 .LBB18_83
; %bb.82:
	v_cmp_neq_f32_e32 vcc_lo, 0, v0
	s_mov_b32 s4, 0
	s_mov_b32 s7, -1
	v_cndmask_b32_e64 v1, 0, 1, vcc_lo
	global_store_byte v[2:3], v1, off
.LBB18_83:
	s_branch .LBB18_10
.LBB18_84:
	s_and_b32 s5, 0xffff, s5
	s_mov_b32 s6, -1
	s_cmp_lt_i32 s5, 5
	s_cbranch_scc1 .LBB18_105
; %bb.85:
	s_cmp_lt_i32 s5, 8
	s_cbranch_scc1 .LBB18_95
; %bb.86:
	;; [unrolled: 3-line block ×3, first 2 shown]
	s_cmp_gt_i32 s5, 9
	s_cbranch_scc0 .LBB18_89
; %bb.88:
	v_cvt_f64_f32_e32 v[4:5], v0
	v_mov_b32_e32 v6, 0
	s_mov_b32 s6, 0
	v_mov_b32_e32 v7, v6
	global_store_dwordx4 v[2:3], v[4:7], off
.LBB18_89:
	s_andn2_b32 vcc_lo, exec_lo, s6
	s_cbranch_vccnz .LBB18_91
; %bb.90:
	v_mov_b32_e32 v1, 0
	global_store_dwordx2 v[2:3], v[0:1], off
.LBB18_91:
	s_mov_b32 s6, 0
.LBB18_92:
	s_andn2_b32 vcc_lo, exec_lo, s6
	s_cbranch_vccnz .LBB18_94
; %bb.93:
	v_cvt_f16_f32_e32 v1, v0
	v_and_b32_e32 v1, 0xffff, v1
	global_store_dword v[2:3], v1, off
.LBB18_94:
	s_mov_b32 s6, 0
.LBB18_95:
	s_andn2_b32 vcc_lo, exec_lo, s6
	s_cbranch_vccnz .LBB18_104
; %bb.96:
	s_cmp_lt_i32 s5, 6
	s_mov_b32 s6, -1
	s_cbranch_scc1 .LBB18_102
; %bb.97:
	s_cmp_gt_i32 s5, 6
	s_cbranch_scc0 .LBB18_99
; %bb.98:
	v_cvt_f64_f32_e32 v[4:5], v0
	s_mov_b32 s6, 0
	global_store_dwordx2 v[2:3], v[4:5], off
.LBB18_99:
	s_andn2_b32 vcc_lo, exec_lo, s6
	s_cbranch_vccnz .LBB18_101
; %bb.100:
	global_store_dword v[2:3], v0, off
.LBB18_101:
	s_mov_b32 s6, 0
.LBB18_102:
	s_andn2_b32 vcc_lo, exec_lo, s6
	s_cbranch_vccnz .LBB18_104
; %bb.103:
	v_cvt_f16_f32_e32 v1, v0
	global_store_short v[2:3], v1, off
.LBB18_104:
	s_mov_b32 s6, 0
.LBB18_105:
	s_andn2_b32 vcc_lo, exec_lo, s6
	s_cbranch_vccnz .LBB18_121
; %bb.106:
	s_cmp_lt_i32 s5, 2
	s_mov_b32 s6, -1
	s_cbranch_scc1 .LBB18_116
; %bb.107:
	s_cmp_lt_i32 s5, 3
	s_cbranch_scc1 .LBB18_113
; %bb.108:
	s_cmp_gt_i32 s5, 3
	s_cbranch_scc0 .LBB18_110
; %bb.109:
	v_trunc_f32_e32 v1, v0
	s_mov_b32 s6, 0
	v_mul_f32_e64 v4, 0x2f800000, |v1|
	v_floor_f32_e32 v4, v4
	v_fma_f32 v5, 0xcf800000, v4, |v1|
	v_ashrrev_i32_e32 v1, 31, v1
	v_cvt_u32_f32_e32 v4, v4
	v_cvt_u32_f32_e32 v5, v5
	v_xor_b32_e32 v6, v4, v1
	v_xor_b32_e32 v5, v5, v1
	v_sub_co_u32 v4, vcc_lo, v5, v1
	v_sub_co_ci_u32_e64 v5, null, v6, v1, vcc_lo
	global_store_dwordx2 v[2:3], v[4:5], off
.LBB18_110:
	s_andn2_b32 vcc_lo, exec_lo, s6
	s_cbranch_vccnz .LBB18_112
; %bb.111:
	v_cvt_i32_f32_e32 v1, v0
	global_store_dword v[2:3], v1, off
.LBB18_112:
	s_mov_b32 s6, 0
.LBB18_113:
	s_andn2_b32 vcc_lo, exec_lo, s6
	s_cbranch_vccnz .LBB18_115
; %bb.114:
	v_cvt_i32_f32_e32 v1, v0
	global_store_short v[2:3], v1, off
.LBB18_115:
	s_mov_b32 s6, 0
.LBB18_116:
	s_andn2_b32 vcc_lo, exec_lo, s6
	s_cbranch_vccnz .LBB18_121
; %bb.117:
	s_cmp_gt_i32 s5, 0
	s_mov_b32 s5, -1
	s_cbranch_scc0 .LBB18_119
; %bb.118:
	v_cvt_i32_f32_e32 v1, v0
	s_mov_b32 s5, 0
	global_store_byte v[2:3], v1, off
.LBB18_119:
	s_andn2_b32 vcc_lo, exec_lo, s5
	s_cbranch_vccnz .LBB18_121
; %bb.120:
	v_trunc_f32_e32 v0, v0
	v_mul_f32_e64 v1, 0x2f800000, |v0|
	v_floor_f32_e32 v1, v1
	v_fma_f32 v1, 0xcf800000, v1, |v0|
	v_ashrrev_i32_e32 v0, 31, v0
	v_cvt_u32_f32_e32 v1, v1
	v_xor_b32_e32 v1, v1, v0
	v_sub_nc_u32_e32 v0, v1, v0
	global_store_byte v[2:3], v0, off
.LBB18_121:
	s_branch .LBB18_11
.LBB18_122:
	s_mov_b32 s5, 0
                                        ; implicit-def: $vgpr34
.LBB18_123:
	s_and_b32 s25, s4, exec_lo
	s_orn2_b32 s4, s5, exec_lo
.LBB18_124:
	s_or_b32 exec_lo, exec_lo, s27
	s_mov_b32 s6, 0
                                        ; implicit-def: $sgpr5
                                        ; implicit-def: $vgpr2_vgpr3
                                        ; implicit-def: $vgpr0
	s_and_saveexec_b32 s27, s4
	s_cbranch_execz .LBB18_133
; %bb.125:
	s_mov_b32 s7, -1
	s_mov_b32 s28, s25
	s_mov_b32 s29, exec_lo
	v_cmpx_gt_i32_e64 s26, v34
	s_cbranch_execz .LBB18_256
; %bb.126:
	v_mov_b32_e32 v0, s18
	v_mov_b32_e32 v1, s19
	;; [unrolled: 1-line block ×5, first 2 shown]
	s_getpc_b64 s[4:5]
	s_add_u32 s4, s4, _ZN2at6native6invokeIZZZNS0_12_GLOBAL__N_121bessel_j1_kernel_cudaERNS_18TensorIteratorBaseEENKUlvE_clEvENKUlvE0_clEvEUlfE_i15function_traitsIS7_EEENT1_11result_typeERKT_PrKPcPKT0_PKN3c1010ScalarTypeEi@rel32@lo+4
	s_addc_u32 s5, s5, _ZN2at6native6invokeIZZZNS0_12_GLOBAL__N_121bessel_j1_kernel_cudaERNS_18TensorIteratorBaseEENKUlvE_clEvENKUlvE0_clEvEUlfE_i15function_traitsIS7_EEENT1_11result_typeERKT_PrKPcPKT0_PKN3c1010ScalarTypeEi@rel32@hi+12
	s_swappc_b64 s[30:31], s[4:5]
	v_mul_lo_u32 v1, v34, s20
	s_and_b32 s5, s22, 0xff
	s_cmp_lt_i32 s5, 11
	v_ashrrev_i32_e32 v3, 31, v1
	v_add_co_u32 v2, vcc_lo, s16, v1
	v_add_co_ci_u32_e64 v3, null, s17, v3, vcc_lo
	s_cbranch_scc1 .LBB18_136
; %bb.127:
	s_and_b32 s6, 0xffff, s5
	s_cmp_gt_i32 s6, 25
	s_cbranch_scc0 .LBB18_139
; %bb.128:
	s_cmp_gt_i32 s6, 28
	s_cbranch_scc0 .LBB18_140
; %bb.129:
	;; [unrolled: 3-line block ×4, first 2 shown]
	s_mov_b32 s8, 0
	s_mov_b32 s4, -1
	s_cmp_eq_u32 s6, 46
	s_mov_b32 s7, 0
	s_cbranch_scc0 .LBB18_147
; %bb.132:
	v_bfe_u32 v1, v0, 16, 1
	v_cmp_o_f32_e32 vcc_lo, v0, v0
	v_mov_b32_e32 v4, 0x7fc0
	s_mov_b32 s7, -1
	s_mov_b32 s4, 0
	v_add3_u32 v1, v0, v1, 0x7fff
	v_cndmask_b32_sdwa v1, v4, v1, vcc_lo dst_sel:DWORD dst_unused:UNUSED_PAD src0_sel:DWORD src1_sel:WORD_1
	global_store_dword v[2:3], v1, off
	s_branch .LBB18_147
.LBB18_133:
	s_or_b32 exec_lo, exec_lo, s27
	s_mov_b32 s4, 0
	s_and_saveexec_b32 s7, s25
	s_cbranch_execnz .LBB18_472
.LBB18_134:
	s_or_b32 exec_lo, exec_lo, s7
	s_and_saveexec_b32 s7, s28
	s_xor_b32 s7, exec_lo, s7
	s_cbranch_execz .LBB18_473
.LBB18_135:
	v_cmp_neq_f32_e32 vcc_lo, 0, v0
	v_cndmask_b32_e64 v1, 0, 1, vcc_lo
	global_store_byte v[2:3], v1, off
	s_or_b32 exec_lo, exec_lo, s7
	s_and_saveexec_b32 s7, s6
	s_xor_b32 s6, exec_lo, s7
	s_cbranch_execz .LBB18_511
	s_branch .LBB18_474
.LBB18_136:
	s_mov_b32 s7, 0
	s_mov_b32 s4, s25
	s_cbranch_execnz .LBB18_216
.LBB18_137:
	s_andn2_b32 vcc_lo, exec_lo, s7
	s_cbranch_vccnz .LBB18_254
.LBB18_138:
	v_add_nc_u32_e32 v34, 0x80, v34
	s_mov_b32 s5, -1
	s_branch .LBB18_255
.LBB18_139:
	s_mov_b32 s8, -1
	s_mov_b32 s7, 0
	s_mov_b32 s4, s25
	s_branch .LBB18_174
.LBB18_140:
	s_mov_b32 s8, -1
	s_mov_b32 s7, 0
	s_mov_b32 s4, s25
	s_branch .LBB18_157
.LBB18_141:
	s_andn2_saveexec_b32 s9, s9
	s_cbranch_execz .LBB18_37
.LBB18_142:
	v_add_f32_e64 v1, 0x46000000, |v0|
	s_andn2_b32 s8, s8, exec_lo
	v_and_b32_e32 v1, 0xff, v1
	v_cmp_ne_u32_e32 vcc_lo, 0, v1
	s_and_b32 s10, vcc_lo, exec_lo
	s_or_b32 s8, s8, s10
	s_or_b32 exec_lo, exec_lo, s9
	v_mov_b32_e32 v4, 0
	s_and_saveexec_b32 s9, s8
	s_cbranch_execnz .LBB18_38
	s_branch .LBB18_39
.LBB18_143:
	s_mov_b32 s8, -1
	s_mov_b32 s7, 0
	s_mov_b32 s4, s25
	s_branch .LBB18_153
.LBB18_144:
	s_andn2_saveexec_b32 s9, s9
	s_cbranch_execz .LBB18_49
.LBB18_145:
	v_add_f32_e64 v1, 0x42800000, |v0|
	s_andn2_b32 s8, s8, exec_lo
	v_and_b32_e32 v1, 0xff, v1
	v_cmp_ne_u32_e32 vcc_lo, 0, v1
	s_and_b32 s10, vcc_lo, exec_lo
	s_or_b32 s8, s8, s10
	s_or_b32 exec_lo, exec_lo, s9
	v_mov_b32_e32 v4, 0
	s_and_saveexec_b32 s9, s8
	s_cbranch_execnz .LBB18_50
	s_branch .LBB18_51
.LBB18_146:
	s_mov_b32 s8, -1
	s_mov_b32 s7, 0
	s_mov_b32 s4, s25
.LBB18_147:
	s_and_b32 vcc_lo, exec_lo, s8
	s_cbranch_vccz .LBB18_152
; %bb.148:
	s_cmp_eq_u32 s6, 44
	s_mov_b32 s4, -1
	s_cbranch_scc0 .LBB18_152
; %bb.149:
	v_bfe_u32 v4, v0, 23, 8
	v_mov_b32_e32 v1, 0xff
	s_mov_b32 s7, exec_lo
	v_cmpx_ne_u32_e32 0xff, v4
	s_cbranch_execz .LBB18_151
; %bb.150:
	v_and_b32_e32 v1, 0x400000, v0
	v_and_or_b32 v4, 0x3fffff, v0, v4
	v_cmp_ne_u32_e32 vcc_lo, 0, v1
	v_cmp_ne_u32_e64 s4, 0, v4
	v_lshrrev_b32_e32 v1, 23, v0
	s_and_b32 s4, vcc_lo, s4
	v_cndmask_b32_e64 v4, 0, 1, s4
	v_add_nc_u32_e32 v1, v1, v4
.LBB18_151:
	s_or_b32 exec_lo, exec_lo, s7
	s_mov_b32 s7, -1
	s_mov_b32 s4, 0
	global_store_byte v[2:3], v1, off
.LBB18_152:
	s_mov_b32 s8, 0
.LBB18_153:
	s_and_b32 vcc_lo, exec_lo, s8
	s_cbranch_vccz .LBB18_156
; %bb.154:
	s_cmp_eq_u32 s6, 29
	s_mov_b32 s4, -1
	s_cbranch_scc0 .LBB18_156
; %bb.155:
	v_trunc_f32_e32 v1, v0
	s_mov_b32 s7, -1
	s_mov_b32 s4, 0
	s_mov_b32 s8, 0
	v_mul_f32_e32 v4, 0x2f800000, v1
	v_floor_f32_e32 v4, v4
	v_fmamk_f32 v1, v4, 0xcf800000, v1
	v_cvt_u32_f32_e32 v5, v4
	v_cvt_u32_f32_e32 v4, v1
	global_store_dwordx2 v[2:3], v[4:5], off
	s_branch .LBB18_157
.LBB18_156:
	s_mov_b32 s8, 0
.LBB18_157:
	s_and_b32 vcc_lo, exec_lo, s8
	s_cbranch_vccz .LBB18_173
; %bb.158:
	s_cmp_lt_i32 s6, 27
	s_mov_b32 s7, -1
	s_cbranch_scc1 .LBB18_164
; %bb.159:
	v_cvt_u32_f32_e32 v1, v0
	s_cmp_gt_i32 s6, 27
	s_cbranch_scc0 .LBB18_161
; %bb.160:
	s_mov_b32 s7, 0
	global_store_dword v[2:3], v1, off
.LBB18_161:
	s_andn2_b32 vcc_lo, exec_lo, s7
	s_cbranch_vccnz .LBB18_163
; %bb.162:
	global_store_short v[2:3], v1, off
.LBB18_163:
	s_mov_b32 s7, 0
.LBB18_164:
	s_andn2_b32 vcc_lo, exec_lo, s7
	s_cbranch_vccnz .LBB18_172
; %bb.165:
	v_and_b32_e32 v1, 0x7fffffff, v0
	v_mov_b32_e32 v4, 0x80
	s_mov_b32 s7, exec_lo
	v_cmpx_gt_u32_e32 0x43800000, v1
	s_cbranch_execz .LBB18_171
; %bb.166:
	v_cmp_lt_u32_e32 vcc_lo, 0x3bffffff, v1
	s_mov_b32 s8, 0
                                        ; implicit-def: $vgpr1
	s_and_saveexec_b32 s9, vcc_lo
	s_xor_b32 s9, exec_lo, s9
	s_cbranch_execz .LBB18_268
; %bb.167:
	v_bfe_u32 v1, v0, 20, 1
	s_mov_b32 s8, exec_lo
	v_add3_u32 v1, v0, v1, 0x487ffff
	v_lshrrev_b32_e32 v1, 20, v1
	s_andn2_saveexec_b32 s9, s9
	s_cbranch_execnz .LBB18_269
.LBB18_168:
	s_or_b32 exec_lo, exec_lo, s9
	v_mov_b32_e32 v4, 0
	s_and_saveexec_b32 s9, s8
.LBB18_169:
	v_lshrrev_b32_e32 v4, 24, v0
	v_and_or_b32 v4, 0x80, v4, v1
.LBB18_170:
	s_or_b32 exec_lo, exec_lo, s9
.LBB18_171:
	s_or_b32 exec_lo, exec_lo, s7
	global_store_byte v[2:3], v4, off
.LBB18_172:
	s_mov_b32 s7, -1
.LBB18_173:
	s_mov_b32 s8, 0
.LBB18_174:
	s_and_b32 vcc_lo, exec_lo, s8
	s_cbranch_vccz .LBB18_215
; %bb.175:
	s_cmp_gt_i32 s6, 22
	s_mov_b32 s8, -1
	s_cbranch_scc0 .LBB18_207
; %bb.176:
	s_cmp_lt_i32 s6, 24
	s_mov_b32 s7, -1
	s_cbranch_scc1 .LBB18_196
; %bb.177:
	s_cmp_gt_i32 s6, 24
	s_cbranch_scc0 .LBB18_185
; %bb.178:
	v_and_b32_e32 v1, 0x7fffffff, v0
	v_mov_b32_e32 v4, 0x80
	s_mov_b32 s7, exec_lo
	v_cmpx_gt_u32_e32 0x47800000, v1
	s_cbranch_execz .LBB18_184
; %bb.179:
	v_cmp_lt_u32_e32 vcc_lo, 0x37ffffff, v1
	s_mov_b32 s8, 0
                                        ; implicit-def: $vgpr1
	s_and_saveexec_b32 s9, vcc_lo
	s_xor_b32 s9, exec_lo, s9
	s_cbranch_execz .LBB18_271
; %bb.180:
	v_bfe_u32 v1, v0, 21, 1
	s_mov_b32 s8, exec_lo
	v_add3_u32 v1, v0, v1, 0x88fffff
	v_lshrrev_b32_e32 v1, 21, v1
	s_andn2_saveexec_b32 s9, s9
	s_cbranch_execnz .LBB18_272
.LBB18_181:
	s_or_b32 exec_lo, exec_lo, s9
	v_mov_b32_e32 v4, 0
	s_and_saveexec_b32 s9, s8
.LBB18_182:
	v_lshrrev_b32_e32 v4, 24, v0
	v_and_or_b32 v4, 0x80, v4, v1
.LBB18_183:
	s_or_b32 exec_lo, exec_lo, s9
.LBB18_184:
	s_or_b32 exec_lo, exec_lo, s7
	s_mov_b32 s7, 0
	global_store_byte v[2:3], v4, off
.LBB18_185:
	s_and_b32 vcc_lo, exec_lo, s7
	s_cbranch_vccz .LBB18_195
; %bb.186:
	v_and_b32_e32 v4, 0x7fffffff, v0
	s_mov_b32 s7, exec_lo
                                        ; implicit-def: $vgpr1
	v_cmpx_gt_u32_e32 0x43f00000, v4
	s_xor_b32 s7, exec_lo, s7
	s_cbranch_execz .LBB18_192
; %bb.187:
	s_mov_b32 s8, exec_lo
                                        ; implicit-def: $vgpr1
	v_cmpx_lt_u32_e32 0x3c7fffff, v4
	s_xor_b32 s8, exec_lo, s8
; %bb.188:
	v_bfe_u32 v1, v0, 20, 1
	v_add3_u32 v1, v0, v1, 0x407ffff
	v_and_b32_e32 v4, 0xff00000, v1
	v_lshrrev_b32_e32 v1, 20, v1
	v_cmp_ne_u32_e32 vcc_lo, 0x7f00000, v4
	v_cndmask_b32_e32 v1, 0x7e, v1, vcc_lo
; %bb.189:
	s_andn2_saveexec_b32 s8, s8
; %bb.190:
	v_add_f32_e64 v1, 0x46800000, |v0|
; %bb.191:
	s_or_b32 exec_lo, exec_lo, s8
                                        ; implicit-def: $vgpr4
.LBB18_192:
	s_andn2_saveexec_b32 s7, s7
; %bb.193:
	v_mov_b32_e32 v1, 0x7f
	v_cmp_lt_u32_e32 vcc_lo, 0x7f800000, v4
	v_cndmask_b32_e32 v1, 0x7e, v1, vcc_lo
; %bb.194:
	s_or_b32 exec_lo, exec_lo, s7
	v_lshrrev_b32_e32 v4, 24, v0
	v_and_or_b32 v1, 0x80, v4, v1
	global_store_byte v[2:3], v1, off
.LBB18_195:
	s_mov_b32 s7, 0
.LBB18_196:
	s_andn2_b32 vcc_lo, exec_lo, s7
	s_cbranch_vccnz .LBB18_206
; %bb.197:
	v_and_b32_e32 v4, 0x7fffffff, v0
	s_mov_b32 s7, exec_lo
                                        ; implicit-def: $vgpr1
	v_cmpx_gt_u32_e32 0x47800000, v4
	s_xor_b32 s7, exec_lo, s7
	s_cbranch_execz .LBB18_203
; %bb.198:
	s_mov_b32 s8, exec_lo
                                        ; implicit-def: $vgpr1
	v_cmpx_lt_u32_e32 0x387fffff, v4
	s_xor_b32 s8, exec_lo, s8
; %bb.199:
	v_bfe_u32 v1, v0, 21, 1
	v_add3_u32 v1, v0, v1, 0x80fffff
	v_lshrrev_b32_e32 v1, 21, v1
; %bb.200:
	s_andn2_saveexec_b32 s8, s8
; %bb.201:
	v_add_f32_e64 v1, 0x43000000, |v0|
; %bb.202:
	s_or_b32 exec_lo, exec_lo, s8
                                        ; implicit-def: $vgpr4
.LBB18_203:
	s_andn2_saveexec_b32 s7, s7
; %bb.204:
	v_mov_b32_e32 v1, 0x7f
	v_cmp_lt_u32_e32 vcc_lo, 0x7f800000, v4
	v_cndmask_b32_e32 v1, 0x7c, v1, vcc_lo
; %bb.205:
	s_or_b32 exec_lo, exec_lo, s7
	v_lshrrev_b32_e32 v4, 24, v0
	v_and_or_b32 v1, 0x80, v4, v1
	global_store_byte v[2:3], v1, off
.LBB18_206:
	s_mov_b32 s8, 0
	s_mov_b32 s7, -1
.LBB18_207:
	s_andn2_b32 vcc_lo, exec_lo, s8
	s_cbranch_vccnz .LBB18_215
; %bb.208:
	s_cmp_gt_i32 s6, 14
	s_mov_b32 s8, -1
	s_cbranch_scc0 .LBB18_212
; %bb.209:
	s_cmp_eq_u32 s6, 15
	s_mov_b32 s4, -1
	s_cbranch_scc0 .LBB18_211
; %bb.210:
	v_bfe_u32 v1, v0, 16, 1
	v_cmp_o_f32_e32 vcc_lo, v0, v0
	v_mov_b32_e32 v4, 0x7fc0
	s_mov_b32 s7, -1
	s_mov_b32 s4, 0
	v_add3_u32 v1, v0, v1, 0x7fff
	v_cndmask_b32_sdwa v1, v4, v1, vcc_lo dst_sel:DWORD dst_unused:UNUSED_PAD src0_sel:DWORD src1_sel:WORD_1
	global_store_short v[2:3], v1, off
.LBB18_211:
	s_mov_b32 s8, 0
.LBB18_212:
	s_and_b32 vcc_lo, exec_lo, s8
	s_cbranch_vccz .LBB18_215
; %bb.213:
	s_cmp_eq_u32 s6, 11
	s_mov_b32 s4, -1
	s_cbranch_scc0 .LBB18_215
; %bb.214:
	v_cmp_neq_f32_e32 vcc_lo, 0, v0
	s_mov_b32 s4, 0
	s_mov_b32 s7, -1
	v_cndmask_b32_e64 v1, 0, 1, vcc_lo
	global_store_byte v[2:3], v1, off
.LBB18_215:
	s_branch .LBB18_137
.LBB18_216:
	s_and_b32 s5, 0xffff, s5
	s_mov_b32 s6, -1
	s_cmp_lt_i32 s5, 5
	s_cbranch_scc1 .LBB18_237
; %bb.217:
	s_cmp_lt_i32 s5, 8
	s_cbranch_scc1 .LBB18_227
; %bb.218:
	;; [unrolled: 3-line block ×3, first 2 shown]
	s_cmp_gt_i32 s5, 9
	s_cbranch_scc0 .LBB18_221
; %bb.220:
	v_cvt_f64_f32_e32 v[4:5], v0
	v_mov_b32_e32 v6, 0
	s_mov_b32 s6, 0
	v_mov_b32_e32 v7, v6
	global_store_dwordx4 v[2:3], v[4:7], off
.LBB18_221:
	s_andn2_b32 vcc_lo, exec_lo, s6
	s_cbranch_vccnz .LBB18_223
; %bb.222:
	v_mov_b32_e32 v1, 0
	global_store_dwordx2 v[2:3], v[0:1], off
.LBB18_223:
	s_mov_b32 s6, 0
.LBB18_224:
	s_andn2_b32 vcc_lo, exec_lo, s6
	s_cbranch_vccnz .LBB18_226
; %bb.225:
	v_cvt_f16_f32_e32 v1, v0
	v_and_b32_e32 v1, 0xffff, v1
	global_store_dword v[2:3], v1, off
.LBB18_226:
	s_mov_b32 s6, 0
.LBB18_227:
	s_andn2_b32 vcc_lo, exec_lo, s6
	s_cbranch_vccnz .LBB18_236
; %bb.228:
	s_cmp_lt_i32 s5, 6
	s_mov_b32 s6, -1
	s_cbranch_scc1 .LBB18_234
; %bb.229:
	s_cmp_gt_i32 s5, 6
	s_cbranch_scc0 .LBB18_231
; %bb.230:
	v_cvt_f64_f32_e32 v[4:5], v0
	s_mov_b32 s6, 0
	global_store_dwordx2 v[2:3], v[4:5], off
.LBB18_231:
	s_andn2_b32 vcc_lo, exec_lo, s6
	s_cbranch_vccnz .LBB18_233
; %bb.232:
	global_store_dword v[2:3], v0, off
.LBB18_233:
	s_mov_b32 s6, 0
.LBB18_234:
	s_andn2_b32 vcc_lo, exec_lo, s6
	s_cbranch_vccnz .LBB18_236
; %bb.235:
	v_cvt_f16_f32_e32 v1, v0
	global_store_short v[2:3], v1, off
.LBB18_236:
	s_mov_b32 s6, 0
.LBB18_237:
	s_andn2_b32 vcc_lo, exec_lo, s6
	s_cbranch_vccnz .LBB18_253
; %bb.238:
	s_cmp_lt_i32 s5, 2
	s_mov_b32 s6, -1
	s_cbranch_scc1 .LBB18_248
; %bb.239:
	s_cmp_lt_i32 s5, 3
	s_cbranch_scc1 .LBB18_245
; %bb.240:
	s_cmp_gt_i32 s5, 3
	s_cbranch_scc0 .LBB18_242
; %bb.241:
	v_trunc_f32_e32 v1, v0
	s_mov_b32 s6, 0
	v_mul_f32_e64 v4, 0x2f800000, |v1|
	v_floor_f32_e32 v4, v4
	v_fma_f32 v5, 0xcf800000, v4, |v1|
	v_ashrrev_i32_e32 v1, 31, v1
	v_cvt_u32_f32_e32 v4, v4
	v_cvt_u32_f32_e32 v5, v5
	v_xor_b32_e32 v6, v4, v1
	v_xor_b32_e32 v5, v5, v1
	v_sub_co_u32 v4, vcc_lo, v5, v1
	v_sub_co_ci_u32_e64 v5, null, v6, v1, vcc_lo
	global_store_dwordx2 v[2:3], v[4:5], off
.LBB18_242:
	s_andn2_b32 vcc_lo, exec_lo, s6
	s_cbranch_vccnz .LBB18_244
; %bb.243:
	v_cvt_i32_f32_e32 v1, v0
	global_store_dword v[2:3], v1, off
.LBB18_244:
	s_mov_b32 s6, 0
.LBB18_245:
	s_andn2_b32 vcc_lo, exec_lo, s6
	s_cbranch_vccnz .LBB18_247
; %bb.246:
	v_cvt_i32_f32_e32 v1, v0
	global_store_short v[2:3], v1, off
.LBB18_247:
	s_mov_b32 s6, 0
.LBB18_248:
	s_andn2_b32 vcc_lo, exec_lo, s6
	s_cbranch_vccnz .LBB18_253
; %bb.249:
	s_cmp_gt_i32 s5, 0
	s_mov_b32 s5, -1
	s_cbranch_scc0 .LBB18_251
; %bb.250:
	v_cvt_i32_f32_e32 v1, v0
	s_mov_b32 s5, 0
	global_store_byte v[2:3], v1, off
.LBB18_251:
	s_andn2_b32 vcc_lo, exec_lo, s5
	s_cbranch_vccnz .LBB18_253
; %bb.252:
	v_trunc_f32_e32 v0, v0
	v_mul_f32_e64 v1, 0x2f800000, |v0|
	v_floor_f32_e32 v1, v1
	v_fma_f32 v1, 0xcf800000, v1, |v0|
	v_ashrrev_i32_e32 v0, 31, v0
	v_cvt_u32_f32_e32 v1, v1
	v_xor_b32_e32 v1, v1, v0
	v_sub_nc_u32_e32 v0, v1, v0
	global_store_byte v[2:3], v0, off
.LBB18_253:
	s_branch .LBB18_138
.LBB18_254:
	s_mov_b32 s5, 0
                                        ; implicit-def: $vgpr34
.LBB18_255:
	s_andn2_b32 s6, s25, exec_lo
	s_and_b32 s4, s4, exec_lo
	s_orn2_b32 s7, s5, exec_lo
	s_or_b32 s28, s6, s4
.LBB18_256:
	s_or_b32 exec_lo, exec_lo, s29
	s_mov_b32 s4, 0
	s_mov_b32 s6, 0
                                        ; implicit-def: $sgpr5
                                        ; implicit-def: $vgpr2_vgpr3
                                        ; implicit-def: $vgpr0
	s_and_saveexec_b32 s29, s7
	s_cbranch_execz .LBB18_471
; %bb.257:
	s_mov_b32 s7, -1
	s_mov_b32 s34, s28
	s_mov_b32 s33, exec_lo
	v_cmpx_gt_i32_e64 s26, v34
	s_cbranch_execz .LBB18_386
; %bb.258:
	v_mov_b32_e32 v0, s18
	v_mov_b32_e32 v1, s19
	v_mov_b32_e32 v2, s21
	v_mov_b32_e32 v3, v35
	v_mov_b32_e32 v4, v34
	s_getpc_b64 s[4:5]
	s_add_u32 s4, s4, _ZN2at6native6invokeIZZZNS0_12_GLOBAL__N_121bessel_j1_kernel_cudaERNS_18TensorIteratorBaseEENKUlvE_clEvENKUlvE0_clEvEUlfE_i15function_traitsIS7_EEENT1_11result_typeERKT_PrKPcPKT0_PKN3c1010ScalarTypeEi@rel32@lo+4
	s_addc_u32 s5, s5, _ZN2at6native6invokeIZZZNS0_12_GLOBAL__N_121bessel_j1_kernel_cudaERNS_18TensorIteratorBaseEENKUlvE_clEvENKUlvE0_clEvEUlfE_i15function_traitsIS7_EEENT1_11result_typeERKT_PrKPcPKT0_PKN3c1010ScalarTypeEi@rel32@hi+12
	s_swappc_b64 s[30:31], s[4:5]
	v_mul_lo_u32 v1, v34, s20
	s_and_b32 s5, s22, 0xff
	s_cmp_lt_i32 s5, 11
	v_ashrrev_i32_e32 v3, 31, v1
	v_add_co_u32 v2, vcc_lo, s16, v1
	v_add_co_ci_u32_e64 v3, null, s17, v3, vcc_lo
	s_cbranch_scc1 .LBB18_265
; %bb.259:
	s_and_b32 s6, 0xffff, s5
	s_cmp_gt_i32 s6, 25
	s_cbranch_scc0 .LBB18_266
; %bb.260:
	s_cmp_gt_i32 s6, 28
	s_cbranch_scc0 .LBB18_267
; %bb.261:
	s_cmp_gt_i32 s6, 43
	s_cbranch_scc0 .LBB18_270
; %bb.262:
	s_cmp_gt_i32 s6, 45
	s_cbranch_scc0 .LBB18_273
; %bb.263:
	s_mov_b32 s8, 0
	s_mov_b32 s4, -1
	s_cmp_eq_u32 s6, 46
	s_mov_b32 s7, 0
	s_cbranch_scc0 .LBB18_274
; %bb.264:
	v_bfe_u32 v1, v0, 16, 1
	v_cmp_o_f32_e32 vcc_lo, v0, v0
	v_mov_b32_e32 v4, 0x7fc0
	s_mov_b32 s7, -1
	s_mov_b32 s4, 0
	v_add3_u32 v1, v0, v1, 0x7fff
	v_cndmask_b32_sdwa v1, v4, v1, vcc_lo dst_sel:DWORD dst_unused:UNUSED_PAD src0_sel:DWORD src1_sel:WORD_1
	global_store_dword v[2:3], v1, off
	s_branch .LBB18_274
.LBB18_265:
	s_mov_b32 s6, -1
	s_mov_b32 s7, 0
	s_mov_b32 s4, s28
	s_branch .LBB18_343
.LBB18_266:
	s_mov_b32 s8, -1
	s_mov_b32 s7, 0
	s_mov_b32 s4, s28
	s_branch .LBB18_301
.LBB18_267:
	s_mov_b32 s8, -1
	s_mov_b32 s7, 0
	s_mov_b32 s4, s28
	s_branch .LBB18_284
.LBB18_268:
	s_andn2_saveexec_b32 s9, s9
	s_cbranch_execz .LBB18_168
.LBB18_269:
	v_add_f32_e64 v1, 0x46000000, |v0|
	s_andn2_b32 s8, s8, exec_lo
	v_and_b32_e32 v1, 0xff, v1
	v_cmp_ne_u32_e32 vcc_lo, 0, v1
	s_and_b32 s10, vcc_lo, exec_lo
	s_or_b32 s8, s8, s10
	s_or_b32 exec_lo, exec_lo, s9
	v_mov_b32_e32 v4, 0
	s_and_saveexec_b32 s9, s8
	s_cbranch_execnz .LBB18_169
	s_branch .LBB18_170
.LBB18_270:
	s_mov_b32 s8, -1
	s_mov_b32 s7, 0
	s_mov_b32 s4, s28
	s_branch .LBB18_280
.LBB18_271:
	s_andn2_saveexec_b32 s9, s9
	s_cbranch_execz .LBB18_181
.LBB18_272:
	v_add_f32_e64 v1, 0x42800000, |v0|
	s_andn2_b32 s8, s8, exec_lo
	v_and_b32_e32 v1, 0xff, v1
	v_cmp_ne_u32_e32 vcc_lo, 0, v1
	s_and_b32 s10, vcc_lo, exec_lo
	s_or_b32 s8, s8, s10
	s_or_b32 exec_lo, exec_lo, s9
	v_mov_b32_e32 v4, 0
	s_and_saveexec_b32 s9, s8
	s_cbranch_execnz .LBB18_182
	s_branch .LBB18_183
.LBB18_273:
	s_mov_b32 s8, -1
	s_mov_b32 s7, 0
	s_mov_b32 s4, s28
.LBB18_274:
	s_and_b32 vcc_lo, exec_lo, s8
	s_cbranch_vccz .LBB18_279
; %bb.275:
	s_cmp_eq_u32 s6, 44
	s_mov_b32 s4, -1
	s_cbranch_scc0 .LBB18_279
; %bb.276:
	v_bfe_u32 v4, v0, 23, 8
	v_mov_b32_e32 v1, 0xff
	s_mov_b32 s7, exec_lo
	v_cmpx_ne_u32_e32 0xff, v4
	s_cbranch_execz .LBB18_278
; %bb.277:
	v_and_b32_e32 v1, 0x400000, v0
	v_and_or_b32 v4, 0x3fffff, v0, v4
	v_cmp_ne_u32_e32 vcc_lo, 0, v1
	v_cmp_ne_u32_e64 s4, 0, v4
	v_lshrrev_b32_e32 v1, 23, v0
	s_and_b32 s4, vcc_lo, s4
	v_cndmask_b32_e64 v4, 0, 1, s4
	v_add_nc_u32_e32 v1, v1, v4
.LBB18_278:
	s_or_b32 exec_lo, exec_lo, s7
	s_mov_b32 s7, -1
	s_mov_b32 s4, 0
	global_store_byte v[2:3], v1, off
.LBB18_279:
	s_mov_b32 s8, 0
.LBB18_280:
	s_and_b32 vcc_lo, exec_lo, s8
	s_cbranch_vccz .LBB18_283
; %bb.281:
	s_cmp_eq_u32 s6, 29
	s_mov_b32 s4, -1
	s_cbranch_scc0 .LBB18_283
; %bb.282:
	v_trunc_f32_e32 v1, v0
	s_mov_b32 s7, -1
	s_mov_b32 s4, 0
	s_mov_b32 s8, 0
	v_mul_f32_e32 v4, 0x2f800000, v1
	v_floor_f32_e32 v4, v4
	v_fmamk_f32 v1, v4, 0xcf800000, v1
	v_cvt_u32_f32_e32 v5, v4
	v_cvt_u32_f32_e32 v4, v1
	global_store_dwordx2 v[2:3], v[4:5], off
	s_branch .LBB18_284
.LBB18_283:
	s_mov_b32 s8, 0
.LBB18_284:
	s_and_b32 vcc_lo, exec_lo, s8
	s_cbranch_vccz .LBB18_300
; %bb.285:
	s_cmp_lt_i32 s6, 27
	s_mov_b32 s7, -1
	s_cbranch_scc1 .LBB18_291
; %bb.286:
	v_cvt_u32_f32_e32 v1, v0
	s_cmp_gt_i32 s6, 27
	s_cbranch_scc0 .LBB18_288
; %bb.287:
	s_mov_b32 s7, 0
	global_store_dword v[2:3], v1, off
.LBB18_288:
	s_andn2_b32 vcc_lo, exec_lo, s7
	s_cbranch_vccnz .LBB18_290
; %bb.289:
	global_store_short v[2:3], v1, off
.LBB18_290:
	s_mov_b32 s7, 0
.LBB18_291:
	s_andn2_b32 vcc_lo, exec_lo, s7
	s_cbranch_vccnz .LBB18_299
; %bb.292:
	v_and_b32_e32 v1, 0x7fffffff, v0
	v_mov_b32_e32 v4, 0x80
	s_mov_b32 s7, exec_lo
	v_cmpx_gt_u32_e32 0x43800000, v1
	s_cbranch_execz .LBB18_298
; %bb.293:
	v_cmp_lt_u32_e32 vcc_lo, 0x3bffffff, v1
	s_mov_b32 s8, 0
                                        ; implicit-def: $vgpr1
	s_and_saveexec_b32 s9, vcc_lo
	s_xor_b32 s9, exec_lo, s9
	s_cbranch_execz .LBB18_396
; %bb.294:
	v_bfe_u32 v1, v0, 20, 1
	s_mov_b32 s8, exec_lo
	v_add3_u32 v1, v0, v1, 0x487ffff
	v_lshrrev_b32_e32 v1, 20, v1
	s_andn2_saveexec_b32 s9, s9
	s_cbranch_execnz .LBB18_397
.LBB18_295:
	s_or_b32 exec_lo, exec_lo, s9
	v_mov_b32_e32 v4, 0
	s_and_saveexec_b32 s9, s8
.LBB18_296:
	v_lshrrev_b32_e32 v4, 24, v0
	v_and_or_b32 v4, 0x80, v4, v1
.LBB18_297:
	s_or_b32 exec_lo, exec_lo, s9
.LBB18_298:
	s_or_b32 exec_lo, exec_lo, s7
	global_store_byte v[2:3], v4, off
.LBB18_299:
	s_mov_b32 s7, -1
.LBB18_300:
	s_mov_b32 s8, 0
.LBB18_301:
	s_and_b32 vcc_lo, exec_lo, s8
	s_cbranch_vccz .LBB18_342
; %bb.302:
	s_cmp_gt_i32 s6, 22
	s_mov_b32 s8, -1
	s_cbranch_scc0 .LBB18_334
; %bb.303:
	s_cmp_lt_i32 s6, 24
	s_mov_b32 s7, -1
	s_cbranch_scc1 .LBB18_323
; %bb.304:
	s_cmp_gt_i32 s6, 24
	s_cbranch_scc0 .LBB18_312
; %bb.305:
	v_and_b32_e32 v1, 0x7fffffff, v0
	v_mov_b32_e32 v4, 0x80
	s_mov_b32 s7, exec_lo
	v_cmpx_gt_u32_e32 0x47800000, v1
	s_cbranch_execz .LBB18_311
; %bb.306:
	v_cmp_lt_u32_e32 vcc_lo, 0x37ffffff, v1
	s_mov_b32 s8, 0
                                        ; implicit-def: $vgpr1
	s_and_saveexec_b32 s9, vcc_lo
	s_xor_b32 s9, exec_lo, s9
	s_cbranch_execz .LBB18_398
; %bb.307:
	v_bfe_u32 v1, v0, 21, 1
	s_mov_b32 s8, exec_lo
	v_add3_u32 v1, v0, v1, 0x88fffff
	v_lshrrev_b32_e32 v1, 21, v1
	s_andn2_saveexec_b32 s9, s9
	s_cbranch_execnz .LBB18_399
.LBB18_308:
	s_or_b32 exec_lo, exec_lo, s9
	v_mov_b32_e32 v4, 0
	s_and_saveexec_b32 s9, s8
.LBB18_309:
	v_lshrrev_b32_e32 v4, 24, v0
	v_and_or_b32 v4, 0x80, v4, v1
.LBB18_310:
	s_or_b32 exec_lo, exec_lo, s9
.LBB18_311:
	s_or_b32 exec_lo, exec_lo, s7
	s_mov_b32 s7, 0
	global_store_byte v[2:3], v4, off
.LBB18_312:
	s_and_b32 vcc_lo, exec_lo, s7
	s_cbranch_vccz .LBB18_322
; %bb.313:
	v_and_b32_e32 v4, 0x7fffffff, v0
	s_mov_b32 s7, exec_lo
                                        ; implicit-def: $vgpr1
	v_cmpx_gt_u32_e32 0x43f00000, v4
	s_xor_b32 s7, exec_lo, s7
	s_cbranch_execz .LBB18_319
; %bb.314:
	s_mov_b32 s8, exec_lo
                                        ; implicit-def: $vgpr1
	v_cmpx_lt_u32_e32 0x3c7fffff, v4
	s_xor_b32 s8, exec_lo, s8
; %bb.315:
	v_bfe_u32 v1, v0, 20, 1
	v_add3_u32 v1, v0, v1, 0x407ffff
	v_and_b32_e32 v4, 0xff00000, v1
	v_lshrrev_b32_e32 v1, 20, v1
	v_cmp_ne_u32_e32 vcc_lo, 0x7f00000, v4
	v_cndmask_b32_e32 v1, 0x7e, v1, vcc_lo
; %bb.316:
	s_andn2_saveexec_b32 s8, s8
; %bb.317:
	v_add_f32_e64 v1, 0x46800000, |v0|
; %bb.318:
	s_or_b32 exec_lo, exec_lo, s8
                                        ; implicit-def: $vgpr4
.LBB18_319:
	s_andn2_saveexec_b32 s7, s7
; %bb.320:
	v_mov_b32_e32 v1, 0x7f
	v_cmp_lt_u32_e32 vcc_lo, 0x7f800000, v4
	v_cndmask_b32_e32 v1, 0x7e, v1, vcc_lo
; %bb.321:
	s_or_b32 exec_lo, exec_lo, s7
	v_lshrrev_b32_e32 v4, 24, v0
	v_and_or_b32 v1, 0x80, v4, v1
	global_store_byte v[2:3], v1, off
.LBB18_322:
	s_mov_b32 s7, 0
.LBB18_323:
	s_andn2_b32 vcc_lo, exec_lo, s7
	s_cbranch_vccnz .LBB18_333
; %bb.324:
	v_and_b32_e32 v4, 0x7fffffff, v0
	s_mov_b32 s7, exec_lo
                                        ; implicit-def: $vgpr1
	v_cmpx_gt_u32_e32 0x47800000, v4
	s_xor_b32 s7, exec_lo, s7
	s_cbranch_execz .LBB18_330
; %bb.325:
	s_mov_b32 s8, exec_lo
                                        ; implicit-def: $vgpr1
	v_cmpx_lt_u32_e32 0x387fffff, v4
	s_xor_b32 s8, exec_lo, s8
; %bb.326:
	v_bfe_u32 v1, v0, 21, 1
	v_add3_u32 v1, v0, v1, 0x80fffff
	v_lshrrev_b32_e32 v1, 21, v1
; %bb.327:
	s_andn2_saveexec_b32 s8, s8
; %bb.328:
	v_add_f32_e64 v1, 0x43000000, |v0|
; %bb.329:
	s_or_b32 exec_lo, exec_lo, s8
                                        ; implicit-def: $vgpr4
.LBB18_330:
	s_andn2_saveexec_b32 s7, s7
; %bb.331:
	v_mov_b32_e32 v1, 0x7f
	v_cmp_lt_u32_e32 vcc_lo, 0x7f800000, v4
	v_cndmask_b32_e32 v1, 0x7c, v1, vcc_lo
; %bb.332:
	s_or_b32 exec_lo, exec_lo, s7
	v_lshrrev_b32_e32 v4, 24, v0
	v_and_or_b32 v1, 0x80, v4, v1
	global_store_byte v[2:3], v1, off
.LBB18_333:
	s_mov_b32 s8, 0
	s_mov_b32 s7, -1
.LBB18_334:
	s_andn2_b32 vcc_lo, exec_lo, s8
	s_cbranch_vccnz .LBB18_342
; %bb.335:
	s_cmp_gt_i32 s6, 14
	s_mov_b32 s8, -1
	s_cbranch_scc0 .LBB18_339
; %bb.336:
	s_cmp_eq_u32 s6, 15
	s_mov_b32 s4, -1
	s_cbranch_scc0 .LBB18_338
; %bb.337:
	v_bfe_u32 v1, v0, 16, 1
	v_cmp_o_f32_e32 vcc_lo, v0, v0
	v_mov_b32_e32 v4, 0x7fc0
	s_mov_b32 s7, -1
	s_mov_b32 s4, 0
	v_add3_u32 v1, v0, v1, 0x7fff
	v_cndmask_b32_sdwa v1, v4, v1, vcc_lo dst_sel:DWORD dst_unused:UNUSED_PAD src0_sel:DWORD src1_sel:WORD_1
	global_store_short v[2:3], v1, off
.LBB18_338:
	s_mov_b32 s8, 0
.LBB18_339:
	s_and_b32 vcc_lo, exec_lo, s8
	s_cbranch_vccz .LBB18_342
; %bb.340:
	s_cmp_eq_u32 s6, 11
	s_mov_b32 s4, -1
	s_cbranch_scc0 .LBB18_342
; %bb.341:
	v_cmp_neq_f32_e32 vcc_lo, 0, v0
	s_mov_b32 s4, 0
	s_mov_b32 s7, -1
	v_cndmask_b32_e64 v1, 0, 1, vcc_lo
	global_store_byte v[2:3], v1, off
.LBB18_342:
	s_mov_b32 s6, 0
.LBB18_343:
	s_and_b32 vcc_lo, exec_lo, s6
	s_cbranch_vccz .LBB18_382
; %bb.344:
	s_and_b32 s5, 0xffff, s5
	s_mov_b32 s6, -1
	s_cmp_lt_i32 s5, 5
	s_cbranch_scc1 .LBB18_365
; %bb.345:
	s_cmp_lt_i32 s5, 8
	s_cbranch_scc1 .LBB18_355
; %bb.346:
	;; [unrolled: 3-line block ×3, first 2 shown]
	s_cmp_gt_i32 s5, 9
	s_cbranch_scc0 .LBB18_349
; %bb.348:
	v_cvt_f64_f32_e32 v[4:5], v0
	v_mov_b32_e32 v6, 0
	s_mov_b32 s6, 0
	v_mov_b32_e32 v7, v6
	global_store_dwordx4 v[2:3], v[4:7], off
.LBB18_349:
	s_andn2_b32 vcc_lo, exec_lo, s6
	s_cbranch_vccnz .LBB18_351
; %bb.350:
	v_mov_b32_e32 v1, 0
	global_store_dwordx2 v[2:3], v[0:1], off
.LBB18_351:
	s_mov_b32 s6, 0
.LBB18_352:
	s_andn2_b32 vcc_lo, exec_lo, s6
	s_cbranch_vccnz .LBB18_354
; %bb.353:
	v_cvt_f16_f32_e32 v1, v0
	v_and_b32_e32 v1, 0xffff, v1
	global_store_dword v[2:3], v1, off
.LBB18_354:
	s_mov_b32 s6, 0
.LBB18_355:
	s_andn2_b32 vcc_lo, exec_lo, s6
	s_cbranch_vccnz .LBB18_364
; %bb.356:
	s_cmp_lt_i32 s5, 6
	s_mov_b32 s6, -1
	s_cbranch_scc1 .LBB18_362
; %bb.357:
	s_cmp_gt_i32 s5, 6
	s_cbranch_scc0 .LBB18_359
; %bb.358:
	v_cvt_f64_f32_e32 v[4:5], v0
	s_mov_b32 s6, 0
	global_store_dwordx2 v[2:3], v[4:5], off
.LBB18_359:
	s_andn2_b32 vcc_lo, exec_lo, s6
	s_cbranch_vccnz .LBB18_361
; %bb.360:
	global_store_dword v[2:3], v0, off
.LBB18_361:
	s_mov_b32 s6, 0
.LBB18_362:
	s_andn2_b32 vcc_lo, exec_lo, s6
	s_cbranch_vccnz .LBB18_364
; %bb.363:
	v_cvt_f16_f32_e32 v1, v0
	global_store_short v[2:3], v1, off
.LBB18_364:
	s_mov_b32 s6, 0
.LBB18_365:
	s_andn2_b32 vcc_lo, exec_lo, s6
	s_cbranch_vccnz .LBB18_381
; %bb.366:
	s_cmp_lt_i32 s5, 2
	s_mov_b32 s6, -1
	s_cbranch_scc1 .LBB18_376
; %bb.367:
	s_cmp_lt_i32 s5, 3
	s_cbranch_scc1 .LBB18_373
; %bb.368:
	s_cmp_gt_i32 s5, 3
	s_cbranch_scc0 .LBB18_370
; %bb.369:
	v_trunc_f32_e32 v1, v0
	s_mov_b32 s6, 0
	v_mul_f32_e64 v4, 0x2f800000, |v1|
	v_floor_f32_e32 v4, v4
	v_fma_f32 v5, 0xcf800000, v4, |v1|
	v_ashrrev_i32_e32 v1, 31, v1
	v_cvt_u32_f32_e32 v4, v4
	v_cvt_u32_f32_e32 v5, v5
	v_xor_b32_e32 v6, v4, v1
	v_xor_b32_e32 v5, v5, v1
	v_sub_co_u32 v4, vcc_lo, v5, v1
	v_sub_co_ci_u32_e64 v5, null, v6, v1, vcc_lo
	global_store_dwordx2 v[2:3], v[4:5], off
.LBB18_370:
	s_andn2_b32 vcc_lo, exec_lo, s6
	s_cbranch_vccnz .LBB18_372
; %bb.371:
	v_cvt_i32_f32_e32 v1, v0
	global_store_dword v[2:3], v1, off
.LBB18_372:
	s_mov_b32 s6, 0
.LBB18_373:
	s_andn2_b32 vcc_lo, exec_lo, s6
	s_cbranch_vccnz .LBB18_375
; %bb.374:
	v_cvt_i32_f32_e32 v1, v0
	global_store_short v[2:3], v1, off
.LBB18_375:
	s_mov_b32 s6, 0
.LBB18_376:
	s_andn2_b32 vcc_lo, exec_lo, s6
	s_cbranch_vccnz .LBB18_381
; %bb.377:
	s_cmp_gt_i32 s5, 0
	s_mov_b32 s5, -1
	s_cbranch_scc0 .LBB18_379
; %bb.378:
	v_cvt_i32_f32_e32 v1, v0
	s_mov_b32 s5, 0
	global_store_byte v[2:3], v1, off
.LBB18_379:
	s_andn2_b32 vcc_lo, exec_lo, s5
	s_cbranch_vccnz .LBB18_381
; %bb.380:
	v_trunc_f32_e32 v0, v0
	v_mul_f32_e64 v1, 0x2f800000, |v0|
	v_floor_f32_e32 v1, v1
	v_fma_f32 v1, 0xcf800000, v1, |v0|
	v_ashrrev_i32_e32 v0, 31, v0
	v_cvt_u32_f32_e32 v1, v1
	v_xor_b32_e32 v1, v1, v0
	v_sub_nc_u32_e32 v0, v1, v0
	global_store_byte v[2:3], v0, off
.LBB18_381:
	s_mov_b32 s7, -1
.LBB18_382:
	s_andn2_b32 vcc_lo, exec_lo, s7
	s_cbranch_vccnz .LBB18_384
; %bb.383:
	v_add_nc_u32_e32 v34, 0x80, v34
	s_mov_b32 s5, -1
	s_branch .LBB18_385
.LBB18_384:
	s_mov_b32 s5, 0
                                        ; implicit-def: $vgpr34
.LBB18_385:
	s_andn2_b32 s6, s28, exec_lo
	s_and_b32 s4, s4, exec_lo
	s_orn2_b32 s7, s5, exec_lo
	s_or_b32 s34, s6, s4
.LBB18_386:
	s_or_b32 exec_lo, exec_lo, s33
	s_mov_b32 s4, 0
	s_mov_b32 s6, 0
                                        ; implicit-def: $sgpr5
                                        ; implicit-def: $vgpr2_vgpr3
                                        ; implicit-def: $vgpr0
	s_and_saveexec_b32 s33, s7
	s_cbranch_execz .LBB18_470
; %bb.387:
	v_cmp_gt_i32_e32 vcc_lo, s26, v34
	s_mov_b32 s7, s34
                                        ; implicit-def: $sgpr5
                                        ; implicit-def: $vgpr2_vgpr3
                                        ; implicit-def: $vgpr0
	s_and_saveexec_b32 s26, vcc_lo
	s_cbranch_execz .LBB18_469
; %bb.388:
	v_mov_b32_e32 v0, s18
	v_mov_b32_e32 v1, s19
	;; [unrolled: 1-line block ×5, first 2 shown]
	s_getpc_b64 s[4:5]
	s_add_u32 s4, s4, _ZN2at6native6invokeIZZZNS0_12_GLOBAL__N_121bessel_j1_kernel_cudaERNS_18TensorIteratorBaseEENKUlvE_clEvENKUlvE0_clEvEUlfE_i15function_traitsIS7_EEENT1_11result_typeERKT_PrKPcPKT0_PKN3c1010ScalarTypeEi@rel32@lo+4
	s_addc_u32 s5, s5, _ZN2at6native6invokeIZZZNS0_12_GLOBAL__N_121bessel_j1_kernel_cudaERNS_18TensorIteratorBaseEENKUlvE_clEvENKUlvE0_clEvEUlfE_i15function_traitsIS7_EEENT1_11result_typeERKT_PrKPcPKT0_PKN3c1010ScalarTypeEi@rel32@hi+12
	s_swappc_b64 s[30:31], s[4:5]
	v_mul_lo_u32 v1, v34, s20
	s_and_b32 s5, s22, 0xff
	s_cmp_lt_i32 s5, 11
	v_ashrrev_i32_e32 v3, 31, v1
	v_add_co_u32 v2, vcc_lo, s16, v1
	v_add_co_ci_u32_e64 v3, null, s17, v3, vcc_lo
	s_cbranch_scc1 .LBB18_395
; %bb.389:
	s_and_b32 s6, 0xffff, s5
	s_mov_b32 s7, -1
	s_cmp_gt_i32 s6, 25
	s_mov_b32 s4, s34
	s_cbranch_scc0 .LBB18_427
; %bb.390:
	s_cmp_gt_i32 s6, 28
	s_mov_b32 s4, s34
	s_cbranch_scc0 .LBB18_411
; %bb.391:
	;; [unrolled: 4-line block ×4, first 2 shown]
	s_cmp_eq_u32 s6, 46
	s_mov_b32 s4, -1
	s_cbranch_scc0 .LBB18_400
; %bb.394:
	v_bfe_u32 v1, v0, 16, 1
	v_cmp_o_f32_e32 vcc_lo, v0, v0
	v_mov_b32_e32 v4, 0x7fc0
	s_mov_b32 s4, 0
	s_mov_b32 s7, 0
	v_add3_u32 v1, v0, v1, 0x7fff
	v_cndmask_b32_sdwa v1, v4, v1, vcc_lo dst_sel:DWORD dst_unused:UNUSED_PAD src0_sel:DWORD src1_sel:WORD_1
	global_store_dword v[2:3], v1, off
	s_branch .LBB18_401
.LBB18_395:
	s_mov_b32 s8, 0
	s_mov_b32 s7, -1
	s_mov_b32 s4, s34
	s_branch .LBB18_468
.LBB18_396:
	s_andn2_saveexec_b32 s9, s9
	s_cbranch_execz .LBB18_295
.LBB18_397:
	v_add_f32_e64 v1, 0x46000000, |v0|
	s_andn2_b32 s8, s8, exec_lo
	v_and_b32_e32 v1, 0xff, v1
	v_cmp_ne_u32_e32 vcc_lo, 0, v1
	s_and_b32 s10, vcc_lo, exec_lo
	s_or_b32 s8, s8, s10
	s_or_b32 exec_lo, exec_lo, s9
	v_mov_b32_e32 v4, 0
	s_and_saveexec_b32 s9, s8
	s_cbranch_execnz .LBB18_296
	s_branch .LBB18_297
.LBB18_398:
	s_andn2_saveexec_b32 s9, s9
	s_cbranch_execz .LBB18_308
.LBB18_399:
	v_add_f32_e64 v1, 0x42800000, |v0|
	s_andn2_b32 s8, s8, exec_lo
	v_and_b32_e32 v1, 0xff, v1
	v_cmp_ne_u32_e32 vcc_lo, 0, v1
	s_and_b32 s10, vcc_lo, exec_lo
	s_or_b32 s8, s8, s10
	s_or_b32 exec_lo, exec_lo, s9
	v_mov_b32_e32 v4, 0
	s_and_saveexec_b32 s9, s8
	s_cbranch_execnz .LBB18_309
	s_branch .LBB18_310
.LBB18_400:
	s_mov_b32 s7, 0
.LBB18_401:
	s_and_b32 vcc_lo, exec_lo, s7
	s_cbranch_vccz .LBB18_406
; %bb.402:
	s_cmp_eq_u32 s6, 44
	s_mov_b32 s4, -1
	s_cbranch_scc0 .LBB18_406
; %bb.403:
	v_bfe_u32 v4, v0, 23, 8
	v_mov_b32_e32 v1, 0xff
	s_mov_b32 s7, exec_lo
	v_cmpx_ne_u32_e32 0xff, v4
	s_cbranch_execz .LBB18_405
; %bb.404:
	v_and_b32_e32 v1, 0x400000, v0
	v_and_or_b32 v4, 0x3fffff, v0, v4
	v_cmp_ne_u32_e32 vcc_lo, 0, v1
	v_cmp_ne_u32_e64 s4, 0, v4
	v_lshrrev_b32_e32 v1, 23, v0
	s_and_b32 s4, vcc_lo, s4
	v_cndmask_b32_e64 v4, 0, 1, s4
	v_add_nc_u32_e32 v1, v1, v4
.LBB18_405:
	s_or_b32 exec_lo, exec_lo, s7
	s_mov_b32 s4, 0
	global_store_byte v[2:3], v1, off
.LBB18_406:
	s_mov_b32 s7, 0
.LBB18_407:
	s_and_b32 vcc_lo, exec_lo, s7
	s_cbranch_vccz .LBB18_410
; %bb.408:
	s_cmp_eq_u32 s6, 29
	s_mov_b32 s4, -1
	s_cbranch_scc0 .LBB18_410
; %bb.409:
	v_trunc_f32_e32 v1, v0
	s_mov_b32 s4, 0
	s_mov_b32 s7, 0
	v_mul_f32_e32 v4, 0x2f800000, v1
	v_floor_f32_e32 v4, v4
	v_fmamk_f32 v1, v4, 0xcf800000, v1
	v_cvt_u32_f32_e32 v5, v4
	v_cvt_u32_f32_e32 v4, v1
	global_store_dwordx2 v[2:3], v[4:5], off
	s_branch .LBB18_411
.LBB18_410:
	s_mov_b32 s7, 0
.LBB18_411:
	s_and_b32 vcc_lo, exec_lo, s7
	s_cbranch_vccz .LBB18_426
; %bb.412:
	s_cmp_lt_i32 s6, 27
	s_mov_b32 s7, -1
	s_cbranch_scc1 .LBB18_418
; %bb.413:
	v_cvt_u32_f32_e32 v1, v0
	s_cmp_gt_i32 s6, 27
	s_cbranch_scc0 .LBB18_415
; %bb.414:
	s_mov_b32 s7, 0
	global_store_dword v[2:3], v1, off
.LBB18_415:
	s_andn2_b32 vcc_lo, exec_lo, s7
	s_cbranch_vccnz .LBB18_417
; %bb.416:
	global_store_short v[2:3], v1, off
.LBB18_417:
	s_mov_b32 s7, 0
.LBB18_418:
	s_andn2_b32 vcc_lo, exec_lo, s7
	s_cbranch_vccnz .LBB18_426
; %bb.419:
	v_and_b32_e32 v1, 0x7fffffff, v0
	v_mov_b32_e32 v4, 0x80
	s_mov_b32 s7, exec_lo
	v_cmpx_gt_u32_e32 0x43800000, v1
	s_cbranch_execz .LBB18_425
; %bb.420:
	v_cmp_lt_u32_e32 vcc_lo, 0x3bffffff, v1
	s_mov_b32 s8, 0
                                        ; implicit-def: $vgpr1
	s_and_saveexec_b32 s9, vcc_lo
	s_xor_b32 s9, exec_lo, s9
	s_cbranch_execz .LBB18_1007
; %bb.421:
	v_bfe_u32 v1, v0, 20, 1
	s_mov_b32 s8, exec_lo
	v_add3_u32 v1, v0, v1, 0x487ffff
	v_lshrrev_b32_e32 v1, 20, v1
	s_andn2_saveexec_b32 s9, s9
	s_cbranch_execnz .LBB18_1008
.LBB18_422:
	s_or_b32 exec_lo, exec_lo, s9
	v_mov_b32_e32 v4, 0
	s_and_saveexec_b32 s9, s8
.LBB18_423:
	v_lshrrev_b32_e32 v4, 24, v0
	v_and_or_b32 v4, 0x80, v4, v1
.LBB18_424:
	s_or_b32 exec_lo, exec_lo, s9
.LBB18_425:
	s_or_b32 exec_lo, exec_lo, s7
	global_store_byte v[2:3], v4, off
.LBB18_426:
	s_mov_b32 s7, 0
.LBB18_427:
	s_and_b32 vcc_lo, exec_lo, s7
	s_mov_b32 s7, 0
	s_cbranch_vccz .LBB18_467
; %bb.428:
	s_cmp_gt_i32 s6, 22
	s_mov_b32 s8, -1
	s_cbranch_scc0 .LBB18_460
; %bb.429:
	s_cmp_lt_i32 s6, 24
	s_cbranch_scc1 .LBB18_449
; %bb.430:
	s_cmp_gt_i32 s6, 24
	s_cbranch_scc0 .LBB18_438
; %bb.431:
	v_and_b32_e32 v1, 0x7fffffff, v0
	v_mov_b32_e32 v4, 0x80
	s_mov_b32 s8, exec_lo
	v_cmpx_gt_u32_e32 0x47800000, v1
	s_cbranch_execz .LBB18_437
; %bb.432:
	v_cmp_lt_u32_e32 vcc_lo, 0x37ffffff, v1
	s_mov_b32 s9, 0
                                        ; implicit-def: $vgpr1
	s_and_saveexec_b32 s10, vcc_lo
	s_xor_b32 s10, exec_lo, s10
	s_cbranch_execz .LBB18_1011
; %bb.433:
	v_bfe_u32 v1, v0, 21, 1
	s_mov_b32 s9, exec_lo
	v_add3_u32 v1, v0, v1, 0x88fffff
	v_lshrrev_b32_e32 v1, 21, v1
	s_andn2_saveexec_b32 s10, s10
	s_cbranch_execnz .LBB18_1012
.LBB18_434:
	s_or_b32 exec_lo, exec_lo, s10
	v_mov_b32_e32 v4, 0
	s_and_saveexec_b32 s10, s9
.LBB18_435:
	v_lshrrev_b32_e32 v4, 24, v0
	v_and_or_b32 v4, 0x80, v4, v1
.LBB18_436:
	s_or_b32 exec_lo, exec_lo, s10
.LBB18_437:
	s_or_b32 exec_lo, exec_lo, s8
	s_mov_b32 s8, 0
	global_store_byte v[2:3], v4, off
.LBB18_438:
	s_and_b32 vcc_lo, exec_lo, s8
	s_cbranch_vccz .LBB18_448
; %bb.439:
	v_and_b32_e32 v4, 0x7fffffff, v0
	s_mov_b32 s8, exec_lo
                                        ; implicit-def: $vgpr1
	v_cmpx_gt_u32_e32 0x43f00000, v4
	s_xor_b32 s8, exec_lo, s8
	s_cbranch_execz .LBB18_445
; %bb.440:
	s_mov_b32 s9, exec_lo
                                        ; implicit-def: $vgpr1
	v_cmpx_lt_u32_e32 0x3c7fffff, v4
	s_xor_b32 s9, exec_lo, s9
; %bb.441:
	v_bfe_u32 v1, v0, 20, 1
	v_add3_u32 v1, v0, v1, 0x407ffff
	v_and_b32_e32 v4, 0xff00000, v1
	v_lshrrev_b32_e32 v1, 20, v1
	v_cmp_ne_u32_e32 vcc_lo, 0x7f00000, v4
	v_cndmask_b32_e32 v1, 0x7e, v1, vcc_lo
; %bb.442:
	s_andn2_saveexec_b32 s9, s9
; %bb.443:
	v_add_f32_e64 v1, 0x46800000, |v0|
; %bb.444:
	s_or_b32 exec_lo, exec_lo, s9
                                        ; implicit-def: $vgpr4
.LBB18_445:
	s_andn2_saveexec_b32 s8, s8
; %bb.446:
	v_mov_b32_e32 v1, 0x7f
	v_cmp_lt_u32_e32 vcc_lo, 0x7f800000, v4
	v_cndmask_b32_e32 v1, 0x7e, v1, vcc_lo
; %bb.447:
	s_or_b32 exec_lo, exec_lo, s8
	v_lshrrev_b32_e32 v4, 24, v0
	v_and_or_b32 v1, 0x80, v4, v1
	global_store_byte v[2:3], v1, off
.LBB18_448:
	s_mov_b32 s8, 0
.LBB18_449:
	s_andn2_b32 vcc_lo, exec_lo, s8
	s_cbranch_vccnz .LBB18_459
; %bb.450:
	v_and_b32_e32 v4, 0x7fffffff, v0
	s_mov_b32 s8, exec_lo
                                        ; implicit-def: $vgpr1
	v_cmpx_gt_u32_e32 0x47800000, v4
	s_xor_b32 s8, exec_lo, s8
	s_cbranch_execz .LBB18_456
; %bb.451:
	s_mov_b32 s9, exec_lo
                                        ; implicit-def: $vgpr1
	v_cmpx_lt_u32_e32 0x387fffff, v4
	s_xor_b32 s9, exec_lo, s9
; %bb.452:
	v_bfe_u32 v1, v0, 21, 1
	v_add3_u32 v1, v0, v1, 0x80fffff
	v_lshrrev_b32_e32 v1, 21, v1
; %bb.453:
	s_andn2_saveexec_b32 s9, s9
; %bb.454:
	v_add_f32_e64 v1, 0x43000000, |v0|
; %bb.455:
	s_or_b32 exec_lo, exec_lo, s9
                                        ; implicit-def: $vgpr4
.LBB18_456:
	s_andn2_saveexec_b32 s8, s8
; %bb.457:
	v_mov_b32_e32 v1, 0x7f
	v_cmp_lt_u32_e32 vcc_lo, 0x7f800000, v4
	v_cndmask_b32_e32 v1, 0x7c, v1, vcc_lo
; %bb.458:
	s_or_b32 exec_lo, exec_lo, s8
	v_lshrrev_b32_e32 v4, 24, v0
	v_and_or_b32 v1, 0x80, v4, v1
	global_store_byte v[2:3], v1, off
.LBB18_459:
	s_mov_b32 s8, 0
.LBB18_460:
	s_andn2_b32 vcc_lo, exec_lo, s8
	s_mov_b32 s8, 0
	s_cbranch_vccnz .LBB18_468
; %bb.461:
	s_cmp_gt_i32 s6, 14
	s_mov_b32 s8, -1
	s_cbranch_scc0 .LBB18_465
; %bb.462:
	s_cmp_eq_u32 s6, 15
	s_mov_b32 s4, -1
	s_cbranch_scc0 .LBB18_464
; %bb.463:
	v_bfe_u32 v1, v0, 16, 1
	v_cmp_o_f32_e32 vcc_lo, v0, v0
	v_mov_b32_e32 v4, 0x7fc0
	s_mov_b32 s4, 0
	v_add3_u32 v1, v0, v1, 0x7fff
	v_cndmask_b32_sdwa v1, v4, v1, vcc_lo dst_sel:DWORD dst_unused:UNUSED_PAD src0_sel:DWORD src1_sel:WORD_1
	global_store_short v[2:3], v1, off
.LBB18_464:
	s_mov_b32 s8, 0
.LBB18_465:
	s_and_b32 vcc_lo, exec_lo, s8
	s_mov_b32 s8, 0
	s_cbranch_vccz .LBB18_468
; %bb.466:
	s_cmp_lg_u32 s6, 11
	s_mov_b32 s8, -1
	s_cselect_b32 s6, -1, 0
	s_andn2_b32 s4, s4, exec_lo
	s_and_b32 s6, s6, exec_lo
	s_or_b32 s4, s4, s6
	s_branch .LBB18_468
.LBB18_467:
	s_mov_b32 s8, 0
.LBB18_468:
	s_and_b32 s6, s7, exec_lo
	s_andn2_b32 s7, s34, exec_lo
	s_and_b32 s9, s4, exec_lo
	s_and_b32 s4, s8, exec_lo
	s_or_b32 s7, s7, s9
.LBB18_469:
	s_or_b32 exec_lo, exec_lo, s26
	s_andn2_b32 s8, s34, exec_lo
	s_and_b32 s7, s7, exec_lo
	s_and_b32 s6, s6, exec_lo
	s_and_b32 s4, s4, exec_lo
	s_or_b32 s34, s8, s7
.LBB18_470:
	s_or_b32 exec_lo, exec_lo, s33
	s_andn2_b32 s7, s28, exec_lo
	s_and_b32 s8, s34, exec_lo
	s_and_b32 s6, s6, exec_lo
	;; [unrolled: 1-line block ×3, first 2 shown]
	s_or_b32 s28, s7, s8
.LBB18_471:
	s_or_b32 exec_lo, exec_lo, s29
	s_andn2_b32 s7, s25, exec_lo
	s_and_b32 s8, s28, exec_lo
	s_and_b32 s6, s6, exec_lo
	;; [unrolled: 1-line block ×3, first 2 shown]
	s_or_b32 s25, s7, s8
	s_or_b32 exec_lo, exec_lo, s27
	s_mov_b32 s4, 0
	s_and_saveexec_b32 s7, s25
	s_cbranch_execz .LBB18_134
.LBB18_472:
	s_mov_b32 s4, exec_lo
	s_andn2_b32 s28, s28, exec_lo
	s_trap 2
	s_or_b32 exec_lo, exec_lo, s7
	s_and_saveexec_b32 s7, s28
	s_xor_b32 s7, exec_lo, s7
	s_cbranch_execnz .LBB18_135
.LBB18_473:
	s_or_b32 exec_lo, exec_lo, s7
	s_and_saveexec_b32 s7, s6
	s_xor_b32 s6, exec_lo, s7
	s_cbranch_execz .LBB18_511
.LBB18_474:
	s_sext_i32_i16 s8, s5
	s_mov_b32 s7, -1
	s_cmp_lt_i32 s8, 5
	s_cbranch_scc1 .LBB18_495
; %bb.475:
	s_cmp_lt_i32 s8, 8
	s_cbranch_scc1 .LBB18_485
; %bb.476:
	;; [unrolled: 3-line block ×3, first 2 shown]
	s_cmp_gt_i32 s8, 9
	s_cbranch_scc0 .LBB18_479
; %bb.478:
	v_cvt_f64_f32_e32 v[4:5], v0
	v_mov_b32_e32 v6, 0
	s_mov_b32 s7, 0
	v_mov_b32_e32 v7, v6
	global_store_dwordx4 v[2:3], v[4:7], off
.LBB18_479:
	s_andn2_b32 vcc_lo, exec_lo, s7
	s_cbranch_vccnz .LBB18_481
; %bb.480:
	v_mov_b32_e32 v1, 0
	global_store_dwordx2 v[2:3], v[0:1], off
.LBB18_481:
	s_mov_b32 s7, 0
.LBB18_482:
	s_andn2_b32 vcc_lo, exec_lo, s7
	s_cbranch_vccnz .LBB18_484
; %bb.483:
	v_cvt_f16_f32_e32 v1, v0
	v_and_b32_e32 v1, 0xffff, v1
	global_store_dword v[2:3], v1, off
.LBB18_484:
	s_mov_b32 s7, 0
.LBB18_485:
	s_andn2_b32 vcc_lo, exec_lo, s7
	s_cbranch_vccnz .LBB18_494
; %bb.486:
	s_sext_i32_i16 s8, s5
	s_mov_b32 s7, -1
	s_cmp_lt_i32 s8, 6
	s_cbranch_scc1 .LBB18_492
; %bb.487:
	s_cmp_gt_i32 s8, 6
	s_cbranch_scc0 .LBB18_489
; %bb.488:
	v_cvt_f64_f32_e32 v[4:5], v0
	s_mov_b32 s7, 0
	global_store_dwordx2 v[2:3], v[4:5], off
.LBB18_489:
	s_andn2_b32 vcc_lo, exec_lo, s7
	s_cbranch_vccnz .LBB18_491
; %bb.490:
	global_store_dword v[2:3], v0, off
.LBB18_491:
	s_mov_b32 s7, 0
.LBB18_492:
	s_andn2_b32 vcc_lo, exec_lo, s7
	s_cbranch_vccnz .LBB18_494
; %bb.493:
	v_cvt_f16_f32_e32 v1, v0
	global_store_short v[2:3], v1, off
.LBB18_494:
	s_mov_b32 s7, 0
.LBB18_495:
	s_andn2_b32 vcc_lo, exec_lo, s7
	s_cbranch_vccnz .LBB18_511
; %bb.496:
	s_sext_i32_i16 s8, s5
	s_mov_b32 s7, -1
	s_cmp_lt_i32 s8, 2
	s_cbranch_scc1 .LBB18_506
; %bb.497:
	s_cmp_lt_i32 s8, 3
	s_cbranch_scc1 .LBB18_503
; %bb.498:
	s_cmp_gt_i32 s8, 3
	s_cbranch_scc0 .LBB18_500
; %bb.499:
	v_trunc_f32_e32 v1, v0
	s_mov_b32 s7, 0
	v_mul_f32_e64 v4, 0x2f800000, |v1|
	v_floor_f32_e32 v4, v4
	v_fma_f32 v5, 0xcf800000, v4, |v1|
	v_ashrrev_i32_e32 v1, 31, v1
	v_cvt_u32_f32_e32 v4, v4
	v_cvt_u32_f32_e32 v5, v5
	v_xor_b32_e32 v6, v4, v1
	v_xor_b32_e32 v5, v5, v1
	v_sub_co_u32 v4, vcc_lo, v5, v1
	v_sub_co_ci_u32_e64 v5, null, v6, v1, vcc_lo
	global_store_dwordx2 v[2:3], v[4:5], off
.LBB18_500:
	s_andn2_b32 vcc_lo, exec_lo, s7
	s_cbranch_vccnz .LBB18_502
; %bb.501:
	v_cvt_i32_f32_e32 v1, v0
	global_store_dword v[2:3], v1, off
.LBB18_502:
	s_mov_b32 s7, 0
.LBB18_503:
	s_andn2_b32 vcc_lo, exec_lo, s7
	s_cbranch_vccnz .LBB18_505
; %bb.504:
	v_cvt_i32_f32_e32 v1, v0
	global_store_short v[2:3], v1, off
.LBB18_505:
	s_mov_b32 s7, 0
.LBB18_506:
	s_andn2_b32 vcc_lo, exec_lo, s7
	s_cbranch_vccnz .LBB18_511
; %bb.507:
	s_sext_i32_i16 s5, s5
	s_cmp_gt_i32 s5, 0
	s_mov_b32 s5, -1
	s_cbranch_scc0 .LBB18_509
; %bb.508:
	v_cvt_i32_f32_e32 v1, v0
	s_mov_b32 s5, 0
	global_store_byte v[2:3], v1, off
.LBB18_509:
	s_andn2_b32 vcc_lo, exec_lo, s5
	s_cbranch_vccnz .LBB18_511
; %bb.510:
	v_trunc_f32_e32 v0, v0
	v_mul_f32_e64 v1, 0x2f800000, |v0|
	v_floor_f32_e32 v1, v1
	v_fma_f32 v1, 0xcf800000, v1, |v0|
	v_ashrrev_i32_e32 v0, 31, v0
	v_cvt_u32_f32_e32 v1, v1
	v_xor_b32_e32 v1, v1, v0
	v_sub_nc_u32_e32 v0, v1, v0
	global_store_byte v[2:3], v0, off
.LBB18_511:
	s_or_b32 exec_lo, exec_lo, s6
	s_and_b32 s25, s4, exec_lo
                                        ; implicit-def: $vgpr34
                                        ; implicit-def: $vgpr35
                                        ; implicit-def: $vgpr36
.LBB18_512:
	s_or_saveexec_b32 s24, s24
	s_mov_b32 s4, 0
                                        ; implicit-def: $sgpr5
                                        ; implicit-def: $vgpr2_vgpr3
                                        ; implicit-def: $vgpr0
	s_xor_b32 exec_lo, exec_lo, s24
	s_cbranch_execz .LBB18_945
; %bb.513:
	v_mov_b32_e32 v0, s18
	v_mov_b32_e32 v1, s19
	;; [unrolled: 1-line block ×5, first 2 shown]
	s_getpc_b64 s[26:27]
	s_add_u32 s26, s26, _ZN2at6native6invokeIZZZNS0_12_GLOBAL__N_121bessel_j1_kernel_cudaERNS_18TensorIteratorBaseEENKUlvE_clEvENKUlvE0_clEvEUlfE_i15function_traitsIS7_EEENT1_11result_typeERKT_PrKPcPKT0_PKN3c1010ScalarTypeEi@rel32@lo+4
	s_addc_u32 s27, s27, _ZN2at6native6invokeIZZZNS0_12_GLOBAL__N_121bessel_j1_kernel_cudaERNS_18TensorIteratorBaseEENKUlvE_clEvENKUlvE0_clEvEUlfE_i15function_traitsIS7_EEENT1_11result_typeERKT_PrKPcPKT0_PKN3c1010ScalarTypeEi@rel32@hi+12
	v_add_nc_u32_e32 v31, 0x80, v34
	v_add_nc_u32_e32 v37, 0x100, v34
	s_swappc_b64 s[30:31], s[26:27]
	v_mov_b32_e32 v33, v0
	v_mov_b32_e32 v0, s18
	v_mov_b32_e32 v1, s19
	v_mov_b32_e32 v2, s21
	v_mov_b32_e32 v3, v35
	v_mov_b32_e32 v4, v31
	s_swappc_b64 s[30:31], s[26:27]
	v_mov_b32_e32 v32, v0
	v_mov_b32_e32 v0, s18
	v_mov_b32_e32 v1, s19
	v_mov_b32_e32 v2, s21
	v_mov_b32_e32 v3, v35
	v_mov_b32_e32 v4, v37
	;; [unrolled: 7-line block ×3, first 2 shown]
	s_swappc_b64 s[30:31], s[26:27]
	v_mul_lo_u32 v3, s20, v34
	s_and_b32 s5, s22, 0xff
	s_cmp_lt_i32 s5, 11
	v_ashrrev_i32_e32 v2, 31, v3
	v_add_co_u32 v1, vcc_lo, s16, v3
	v_add_co_ci_u32_e64 v2, null, s17, v2, vcc_lo
	s_cbranch_scc1 .LBB18_592
; %bb.514:
	s_and_b32 s6, 0xffff, s5
	s_mov_b32 s9, -1
	s_mov_b32 s7, 0
	s_cmp_gt_i32 s6, 25
	s_mov_b32 s8, 0
	s_mov_b32 s4, 0
	s_cbranch_scc0 .LBB18_547
; %bb.515:
	s_cmp_gt_i32 s6, 28
	s_cbranch_scc0 .LBB18_530
; %bb.516:
	s_cmp_gt_i32 s6, 43
	s_cbranch_scc0 .LBB18_526
; %bb.517:
	s_cmp_gt_i32 s6, 45
	s_cbranch_scc0 .LBB18_520
; %bb.518:
	s_mov_b32 s4, -1
	s_mov_b32 s9, 0
	s_cmp_eq_u32 s6, 46
	s_cbranch_scc0 .LBB18_520
; %bb.519:
	v_bfe_u32 v4, v33, 16, 1
	v_cmp_o_f32_e32 vcc_lo, v33, v33
	v_mov_b32_e32 v5, 0x7fc0
	s_mov_b32 s4, 0
	s_mov_b32 s8, -1
	v_add3_u32 v4, v33, v4, 0x7fff
	v_cndmask_b32_sdwa v4, v5, v4, vcc_lo dst_sel:DWORD dst_unused:UNUSED_PAD src0_sel:DWORD src1_sel:WORD_1
	global_store_dword v[1:2], v4, off
.LBB18_520:
	s_and_b32 vcc_lo, exec_lo, s9
	s_cbranch_vccz .LBB18_525
; %bb.521:
	s_cmp_eq_u32 s6, 44
	s_mov_b32 s4, -1
	s_cbranch_scc0 .LBB18_525
; %bb.522:
	v_bfe_u32 v5, v33, 23, 8
	v_mov_b32_e32 v4, 0xff
	s_mov_b32 s8, exec_lo
	v_cmpx_ne_u32_e32 0xff, v5
	s_cbranch_execz .LBB18_524
; %bb.523:
	v_and_b32_e32 v4, 0x400000, v33
	v_and_or_b32 v5, 0x3fffff, v33, v5
	v_cmp_ne_u32_e32 vcc_lo, 0, v4
	v_cmp_ne_u32_e64 s4, 0, v5
	v_lshrrev_b32_e32 v4, 23, v33
	s_and_b32 s4, vcc_lo, s4
	v_cndmask_b32_e64 v5, 0, 1, s4
	v_add_nc_u32_e32 v4, v4, v5
.LBB18_524:
	s_or_b32 exec_lo, exec_lo, s8
	s_mov_b32 s4, 0
	s_mov_b32 s8, -1
	global_store_byte v[1:2], v4, off
.LBB18_525:
	s_mov_b32 s9, 0
.LBB18_526:
	s_and_b32 vcc_lo, exec_lo, s9
	s_cbranch_vccz .LBB18_529
; %bb.527:
	s_cmp_eq_u32 s6, 29
	s_mov_b32 s4, -1
	s_cbranch_scc0 .LBB18_529
; %bb.528:
	v_trunc_f32_e32 v4, v33
	s_mov_b32 s4, 0
	s_mov_b32 s8, -1
	v_mul_f32_e32 v5, 0x2f800000, v4
	v_floor_f32_e32 v5, v5
	v_fmamk_f32 v4, v5, 0xcf800000, v4
	v_cvt_u32_f32_e32 v5, v5
	v_cvt_u32_f32_e32 v4, v4
	global_store_dwordx2 v[1:2], v[4:5], off
.LBB18_529:
	s_mov_b32 s9, 0
.LBB18_530:
	s_and_b32 vcc_lo, exec_lo, s9
	s_cbranch_vccz .LBB18_546
; %bb.531:
	s_cmp_lt_i32 s6, 27
	s_mov_b32 s8, -1
	s_cbranch_scc1 .LBB18_537
; %bb.532:
	v_cvt_u32_f32_e32 v4, v33
	s_cmp_gt_i32 s6, 27
	s_cbranch_scc0 .LBB18_534
; %bb.533:
	s_mov_b32 s8, 0
	global_store_dword v[1:2], v4, off
.LBB18_534:
	s_andn2_b32 vcc_lo, exec_lo, s8
	s_cbranch_vccnz .LBB18_536
; %bb.535:
	global_store_short v[1:2], v4, off
.LBB18_536:
	s_mov_b32 s8, 0
.LBB18_537:
	s_andn2_b32 vcc_lo, exec_lo, s8
	s_cbranch_vccnz .LBB18_545
; %bb.538:
	v_and_b32_e32 v4, 0x7fffffff, v33
	v_mov_b32_e32 v5, 0x80
	s_mov_b32 s8, exec_lo
	v_cmpx_gt_u32_e32 0x43800000, v4
	s_cbranch_execz .LBB18_544
; %bb.539:
	v_cmp_lt_u32_e32 vcc_lo, 0x3bffffff, v4
	s_mov_b32 s9, 0
                                        ; implicit-def: $vgpr4
	s_and_saveexec_b32 s10, vcc_lo
	s_xor_b32 s10, exec_lo, s10
	s_cbranch_execz .LBB18_989
; %bb.540:
	v_bfe_u32 v4, v33, 20, 1
	s_mov_b32 s9, exec_lo
	v_add3_u32 v4, v33, v4, 0x487ffff
	v_lshrrev_b32_e32 v4, 20, v4
	s_andn2_saveexec_b32 s10, s10
	s_cbranch_execnz .LBB18_990
.LBB18_541:
	s_or_b32 exec_lo, exec_lo, s10
	v_mov_b32_e32 v5, 0
	s_and_saveexec_b32 s10, s9
.LBB18_542:
	v_lshrrev_b32_e32 v5, 24, v33
	v_and_or_b32 v5, 0x80, v5, v4
.LBB18_543:
	s_or_b32 exec_lo, exec_lo, s10
.LBB18_544:
	s_or_b32 exec_lo, exec_lo, s8
	global_store_byte v[1:2], v5, off
.LBB18_545:
	s_mov_b32 s8, -1
.LBB18_546:
	s_mov_b32 s9, 0
.LBB18_547:
	s_and_b32 vcc_lo, exec_lo, s9
	s_cbranch_vccz .LBB18_587
; %bb.548:
	s_cmp_gt_i32 s6, 22
	s_mov_b32 s7, -1
	s_cbranch_scc0 .LBB18_580
; %bb.549:
	s_cmp_lt_i32 s6, 24
	s_cbranch_scc1 .LBB18_569
; %bb.550:
	s_cmp_gt_i32 s6, 24
	s_cbranch_scc0 .LBB18_558
; %bb.551:
	v_and_b32_e32 v4, 0x7fffffff, v33
	v_mov_b32_e32 v5, 0x80
	s_mov_b32 s7, exec_lo
	v_cmpx_gt_u32_e32 0x47800000, v4
	s_cbranch_execz .LBB18_557
; %bb.552:
	v_cmp_lt_u32_e32 vcc_lo, 0x37ffffff, v4
	s_mov_b32 s8, 0
                                        ; implicit-def: $vgpr4
	s_and_saveexec_b32 s9, vcc_lo
	s_xor_b32 s9, exec_lo, s9
	s_cbranch_execz .LBB18_992
; %bb.553:
	v_bfe_u32 v4, v33, 21, 1
	s_mov_b32 s8, exec_lo
	v_add3_u32 v4, v33, v4, 0x88fffff
	v_lshrrev_b32_e32 v4, 21, v4
	s_andn2_saveexec_b32 s9, s9
	s_cbranch_execnz .LBB18_993
.LBB18_554:
	s_or_b32 exec_lo, exec_lo, s9
	v_mov_b32_e32 v5, 0
	s_and_saveexec_b32 s9, s8
.LBB18_555:
	v_lshrrev_b32_e32 v5, 24, v33
	v_and_or_b32 v5, 0x80, v5, v4
.LBB18_556:
	s_or_b32 exec_lo, exec_lo, s9
.LBB18_557:
	s_or_b32 exec_lo, exec_lo, s7
	s_mov_b32 s7, 0
	global_store_byte v[1:2], v5, off
.LBB18_558:
	s_and_b32 vcc_lo, exec_lo, s7
	s_cbranch_vccz .LBB18_568
; %bb.559:
	v_and_b32_e32 v5, 0x7fffffff, v33
	s_mov_b32 s7, exec_lo
                                        ; implicit-def: $vgpr4
	v_cmpx_gt_u32_e32 0x43f00000, v5
	s_xor_b32 s7, exec_lo, s7
	s_cbranch_execz .LBB18_565
; %bb.560:
	s_mov_b32 s8, exec_lo
                                        ; implicit-def: $vgpr4
	v_cmpx_lt_u32_e32 0x3c7fffff, v5
	s_xor_b32 s8, exec_lo, s8
; %bb.561:
	v_bfe_u32 v4, v33, 20, 1
	v_add3_u32 v4, v33, v4, 0x407ffff
	v_and_b32_e32 v5, 0xff00000, v4
	v_lshrrev_b32_e32 v4, 20, v4
	v_cmp_ne_u32_e32 vcc_lo, 0x7f00000, v5
	v_cndmask_b32_e32 v4, 0x7e, v4, vcc_lo
; %bb.562:
	s_andn2_saveexec_b32 s8, s8
; %bb.563:
	v_add_f32_e64 v4, 0x46800000, |v33|
; %bb.564:
	s_or_b32 exec_lo, exec_lo, s8
                                        ; implicit-def: $vgpr5
.LBB18_565:
	s_andn2_saveexec_b32 s7, s7
; %bb.566:
	v_mov_b32_e32 v4, 0x7f
	v_cmp_lt_u32_e32 vcc_lo, 0x7f800000, v5
	v_cndmask_b32_e32 v4, 0x7e, v4, vcc_lo
; %bb.567:
	s_or_b32 exec_lo, exec_lo, s7
	v_lshrrev_b32_e32 v5, 24, v33
	v_and_or_b32 v4, 0x80, v5, v4
	global_store_byte v[1:2], v4, off
.LBB18_568:
	s_mov_b32 s7, 0
.LBB18_569:
	s_andn2_b32 vcc_lo, exec_lo, s7
	s_cbranch_vccnz .LBB18_579
; %bb.570:
	v_and_b32_e32 v5, 0x7fffffff, v33
	s_mov_b32 s7, exec_lo
                                        ; implicit-def: $vgpr4
	v_cmpx_gt_u32_e32 0x47800000, v5
	s_xor_b32 s7, exec_lo, s7
	s_cbranch_execz .LBB18_576
; %bb.571:
	s_mov_b32 s8, exec_lo
                                        ; implicit-def: $vgpr4
	v_cmpx_lt_u32_e32 0x387fffff, v5
	s_xor_b32 s8, exec_lo, s8
; %bb.572:
	v_bfe_u32 v4, v33, 21, 1
	v_add3_u32 v4, v33, v4, 0x80fffff
	v_lshrrev_b32_e32 v4, 21, v4
; %bb.573:
	s_andn2_saveexec_b32 s8, s8
; %bb.574:
	v_add_f32_e64 v4, 0x43000000, |v33|
; %bb.575:
	s_or_b32 exec_lo, exec_lo, s8
                                        ; implicit-def: $vgpr5
.LBB18_576:
	s_andn2_saveexec_b32 s7, s7
; %bb.577:
	v_mov_b32_e32 v4, 0x7f
	v_cmp_lt_u32_e32 vcc_lo, 0x7f800000, v5
	v_cndmask_b32_e32 v4, 0x7c, v4, vcc_lo
; %bb.578:
	s_or_b32 exec_lo, exec_lo, s7
	v_lshrrev_b32_e32 v5, 24, v33
	v_and_or_b32 v4, 0x80, v5, v4
	global_store_byte v[1:2], v4, off
.LBB18_579:
	s_mov_b32 s7, 0
	s_mov_b32 s8, -1
.LBB18_580:
	s_andn2_b32 vcc_lo, exec_lo, s7
	s_mov_b32 s7, 0
	s_cbranch_vccnz .LBB18_587
; %bb.581:
	s_cmp_gt_i32 s6, 14
	s_mov_b32 s7, -1
	s_cbranch_scc0 .LBB18_585
; %bb.582:
	s_cmp_eq_u32 s6, 15
	s_mov_b32 s4, -1
	s_cbranch_scc0 .LBB18_584
; %bb.583:
	v_bfe_u32 v4, v33, 16, 1
	v_cmp_o_f32_e32 vcc_lo, v33, v33
	v_mov_b32_e32 v5, 0x7fc0
	s_mov_b32 s4, 0
	s_mov_b32 s8, -1
	v_add3_u32 v4, v33, v4, 0x7fff
	v_cndmask_b32_sdwa v4, v5, v4, vcc_lo dst_sel:DWORD dst_unused:UNUSED_PAD src0_sel:DWORD src1_sel:WORD_1
	global_store_short v[1:2], v4, off
.LBB18_584:
	s_mov_b32 s7, 0
.LBB18_585:
	s_and_b32 vcc_lo, exec_lo, s7
	s_mov_b32 s7, 0
	s_cbranch_vccz .LBB18_587
; %bb.586:
	s_cmp_lg_u32 s6, 11
	s_mov_b32 s7, -1
	s_cselect_b32 s4, -1, 0
.LBB18_587:
	s_and_b32 vcc_lo, exec_lo, s4
	s_mov_b32 s6, s25
	s_cbranch_vccnz .LBB18_991
; %bb.588:
	s_andn2_b32 vcc_lo, exec_lo, s7
	s_cbranch_vccnz .LBB18_590
.LBB18_589:
	v_cmp_neq_f32_e32 vcc_lo, 0, v33
	s_mov_b32 s8, -1
	v_cndmask_b32_e64 v4, 0, 1, vcc_lo
	global_store_byte v[1:2], v4, off
.LBB18_590:
.LBB18_591:
	s_andn2_b32 vcc_lo, exec_lo, s8
	s_cbranch_vccz .LBB18_631
	s_branch .LBB18_943
.LBB18_592:
	s_mov_b32 s8, 0
	s_mov_b32 s6, s25
	s_cbranch_execz .LBB18_591
; %bb.593:
	s_and_b32 s4, 0xffff, s5
	s_mov_b32 s7, -1
	s_cmp_lt_i32 s4, 5
	s_cbranch_scc1 .LBB18_614
; %bb.594:
	s_cmp_lt_i32 s4, 8
	s_cbranch_scc1 .LBB18_604
; %bb.595:
	;; [unrolled: 3-line block ×3, first 2 shown]
	s_cmp_gt_i32 s4, 9
	s_cbranch_scc0 .LBB18_598
; %bb.597:
	v_cvt_f64_f32_e32 v[4:5], v33
	v_mov_b32_e32 v6, 0
	s_mov_b32 s7, 0
	v_mov_b32_e32 v7, v6
	global_store_dwordx4 v[1:2], v[4:7], off
.LBB18_598:
	s_andn2_b32 vcc_lo, exec_lo, s7
	s_cbranch_vccnz .LBB18_600
; %bb.599:
	v_mov_b32_e32 v34, 0
	global_store_dwordx2 v[1:2], v[33:34], off
.LBB18_600:
	s_mov_b32 s7, 0
.LBB18_601:
	s_andn2_b32 vcc_lo, exec_lo, s7
	s_cbranch_vccnz .LBB18_603
; %bb.602:
	v_cvt_f16_f32_e32 v4, v33
	v_and_b32_e32 v4, 0xffff, v4
	global_store_dword v[1:2], v4, off
.LBB18_603:
	s_mov_b32 s7, 0
.LBB18_604:
	s_andn2_b32 vcc_lo, exec_lo, s7
	s_cbranch_vccnz .LBB18_613
; %bb.605:
	s_cmp_lt_i32 s4, 6
	s_mov_b32 s7, -1
	s_cbranch_scc1 .LBB18_611
; %bb.606:
	s_cmp_gt_i32 s4, 6
	s_cbranch_scc0 .LBB18_608
; %bb.607:
	v_cvt_f64_f32_e32 v[4:5], v33
	s_mov_b32 s7, 0
	global_store_dwordx2 v[1:2], v[4:5], off
.LBB18_608:
	s_andn2_b32 vcc_lo, exec_lo, s7
	s_cbranch_vccnz .LBB18_610
; %bb.609:
	global_store_dword v[1:2], v33, off
.LBB18_610:
	s_mov_b32 s7, 0
.LBB18_611:
	s_andn2_b32 vcc_lo, exec_lo, s7
	s_cbranch_vccnz .LBB18_613
; %bb.612:
	v_cvt_f16_f32_e32 v4, v33
	global_store_short v[1:2], v4, off
.LBB18_613:
	s_mov_b32 s7, 0
.LBB18_614:
	s_andn2_b32 vcc_lo, exec_lo, s7
	s_cbranch_vccnz .LBB18_630
; %bb.615:
	s_cmp_lt_i32 s4, 2
	s_mov_b32 s7, -1
	s_cbranch_scc1 .LBB18_625
; %bb.616:
	s_cmp_lt_i32 s4, 3
	s_cbranch_scc1 .LBB18_622
; %bb.617:
	s_cmp_gt_i32 s4, 3
	s_cbranch_scc0 .LBB18_619
; %bb.618:
	v_trunc_f32_e32 v4, v33
	s_mov_b32 s7, 0
	v_mul_f32_e64 v5, 0x2f800000, |v4|
	v_ashrrev_i32_e32 v7, 31, v4
	v_floor_f32_e32 v5, v5
	v_fma_f32 v6, 0xcf800000, v5, |v4|
	v_cvt_u32_f32_e32 v5, v5
	v_cvt_u32_f32_e32 v4, v6
	v_xor_b32_e32 v5, v5, v7
	v_xor_b32_e32 v4, v4, v7
	v_sub_co_u32 v4, vcc_lo, v4, v7
	v_sub_co_ci_u32_e64 v5, null, v5, v7, vcc_lo
	global_store_dwordx2 v[1:2], v[4:5], off
.LBB18_619:
	s_andn2_b32 vcc_lo, exec_lo, s7
	s_cbranch_vccnz .LBB18_621
; %bb.620:
	v_cvt_i32_f32_e32 v4, v33
	global_store_dword v[1:2], v4, off
.LBB18_621:
	s_mov_b32 s7, 0
.LBB18_622:
	s_andn2_b32 vcc_lo, exec_lo, s7
	s_cbranch_vccnz .LBB18_624
; %bb.623:
	v_cvt_i32_f32_e32 v4, v33
	global_store_short v[1:2], v4, off
.LBB18_624:
	s_mov_b32 s7, 0
.LBB18_625:
	s_andn2_b32 vcc_lo, exec_lo, s7
	s_cbranch_vccnz .LBB18_630
; %bb.626:
	s_cmp_gt_i32 s4, 0
	s_mov_b32 s4, -1
	s_cbranch_scc0 .LBB18_628
; %bb.627:
	v_cvt_i32_f32_e32 v4, v33
	s_mov_b32 s4, 0
	global_store_byte v[1:2], v4, off
.LBB18_628:
	s_andn2_b32 vcc_lo, exec_lo, s4
	s_cbranch_vccnz .LBB18_630
; %bb.629:
	v_trunc_f32_e32 v4, v33
	v_mul_f32_e64 v5, 0x2f800000, |v4|
	v_floor_f32_e32 v5, v5
	v_fma_f32 v5, 0xcf800000, v5, |v4|
	v_ashrrev_i32_e32 v4, 31, v4
	v_cvt_u32_f32_e32 v5, v5
	v_xor_b32_e32 v5, v5, v4
	v_sub_nc_u32_e32 v4, v5, v4
	global_store_byte v[1:2], v4, off
.LBB18_630:
.LBB18_631:
	s_lshl_b32 s7, s20, 7
	s_cmp_lt_i32 s5, 11
	v_add_nc_u32_e32 v3, s7, v3
	v_ashrrev_i32_e32 v2, 31, v3
	v_add_co_u32 v1, vcc_lo, s16, v3
	v_add_co_ci_u32_e64 v2, null, s17, v2, vcc_lo
	s_cbranch_scc1 .LBB18_710
; %bb.632:
	s_and_b32 s8, 0xffff, s5
	s_mov_b32 s11, -1
	s_mov_b32 s9, 0
	s_cmp_gt_i32 s8, 25
	s_mov_b32 s10, 0
	s_mov_b32 s4, 0
	s_cbranch_scc0 .LBB18_665
; %bb.633:
	s_cmp_gt_i32 s8, 28
	s_cbranch_scc0 .LBB18_648
; %bb.634:
	s_cmp_gt_i32 s8, 43
	;; [unrolled: 3-line block ×3, first 2 shown]
	s_cbranch_scc0 .LBB18_638
; %bb.636:
	s_mov_b32 s4, -1
	s_mov_b32 s11, 0
	s_cmp_eq_u32 s8, 46
	s_cbranch_scc0 .LBB18_638
; %bb.637:
	v_bfe_u32 v4, v32, 16, 1
	v_cmp_o_f32_e32 vcc_lo, v32, v32
	v_mov_b32_e32 v5, 0x7fc0
	s_mov_b32 s4, 0
	s_mov_b32 s10, -1
	v_add3_u32 v4, v32, v4, 0x7fff
	v_cndmask_b32_sdwa v4, v5, v4, vcc_lo dst_sel:DWORD dst_unused:UNUSED_PAD src0_sel:DWORD src1_sel:WORD_1
	global_store_dword v[1:2], v4, off
.LBB18_638:
	s_and_b32 vcc_lo, exec_lo, s11
	s_cbranch_vccz .LBB18_643
; %bb.639:
	s_cmp_eq_u32 s8, 44
	s_mov_b32 s4, -1
	s_cbranch_scc0 .LBB18_643
; %bb.640:
	v_bfe_u32 v5, v32, 23, 8
	v_mov_b32_e32 v4, 0xff
	s_mov_b32 s10, exec_lo
	v_cmpx_ne_u32_e32 0xff, v5
	s_cbranch_execz .LBB18_642
; %bb.641:
	v_and_b32_e32 v4, 0x400000, v32
	v_and_or_b32 v5, 0x3fffff, v32, v5
	v_cmp_ne_u32_e32 vcc_lo, 0, v4
	v_cmp_ne_u32_e64 s4, 0, v5
	v_lshrrev_b32_e32 v4, 23, v32
	s_and_b32 s4, vcc_lo, s4
	v_cndmask_b32_e64 v5, 0, 1, s4
	v_add_nc_u32_e32 v4, v4, v5
.LBB18_642:
	s_or_b32 exec_lo, exec_lo, s10
	s_mov_b32 s4, 0
	s_mov_b32 s10, -1
	global_store_byte v[1:2], v4, off
.LBB18_643:
	s_mov_b32 s11, 0
.LBB18_644:
	s_and_b32 vcc_lo, exec_lo, s11
	s_cbranch_vccz .LBB18_647
; %bb.645:
	s_cmp_eq_u32 s8, 29
	s_mov_b32 s4, -1
	s_cbranch_scc0 .LBB18_647
; %bb.646:
	v_trunc_f32_e32 v4, v32
	s_mov_b32 s4, 0
	s_mov_b32 s10, -1
	v_mul_f32_e32 v5, 0x2f800000, v4
	v_floor_f32_e32 v5, v5
	v_fmamk_f32 v4, v5, 0xcf800000, v4
	v_cvt_u32_f32_e32 v5, v5
	v_cvt_u32_f32_e32 v4, v4
	global_store_dwordx2 v[1:2], v[4:5], off
.LBB18_647:
	s_mov_b32 s11, 0
.LBB18_648:
	s_and_b32 vcc_lo, exec_lo, s11
	s_cbranch_vccz .LBB18_664
; %bb.649:
	s_cmp_lt_i32 s8, 27
	s_mov_b32 s10, -1
	s_cbranch_scc1 .LBB18_655
; %bb.650:
	v_cvt_u32_f32_e32 v4, v32
	s_cmp_gt_i32 s8, 27
	s_cbranch_scc0 .LBB18_652
; %bb.651:
	s_mov_b32 s10, 0
	global_store_dword v[1:2], v4, off
.LBB18_652:
	s_andn2_b32 vcc_lo, exec_lo, s10
	s_cbranch_vccnz .LBB18_654
; %bb.653:
	global_store_short v[1:2], v4, off
.LBB18_654:
	s_mov_b32 s10, 0
.LBB18_655:
	s_andn2_b32 vcc_lo, exec_lo, s10
	s_cbranch_vccnz .LBB18_663
; %bb.656:
	v_and_b32_e32 v4, 0x7fffffff, v32
	v_mov_b32_e32 v5, 0x80
	s_mov_b32 s10, exec_lo
	v_cmpx_gt_u32_e32 0x43800000, v4
	s_cbranch_execz .LBB18_662
; %bb.657:
	v_cmp_lt_u32_e32 vcc_lo, 0x3bffffff, v4
	s_mov_b32 s11, 0
                                        ; implicit-def: $vgpr4
	s_and_saveexec_b32 s12, vcc_lo
	s_xor_b32 s12, exec_lo, s12
	s_cbranch_execz .LBB18_994
; %bb.658:
	v_bfe_u32 v4, v32, 20, 1
	s_mov_b32 s11, exec_lo
	v_add3_u32 v4, v32, v4, 0x487ffff
	v_lshrrev_b32_e32 v4, 20, v4
	s_andn2_saveexec_b32 s12, s12
	s_cbranch_execnz .LBB18_995
.LBB18_659:
	s_or_b32 exec_lo, exec_lo, s12
	v_mov_b32_e32 v5, 0
	s_and_saveexec_b32 s12, s11
.LBB18_660:
	v_lshrrev_b32_e32 v5, 24, v32
	v_and_or_b32 v5, 0x80, v5, v4
.LBB18_661:
	s_or_b32 exec_lo, exec_lo, s12
.LBB18_662:
	s_or_b32 exec_lo, exec_lo, s10
	global_store_byte v[1:2], v5, off
.LBB18_663:
	s_mov_b32 s10, -1
.LBB18_664:
	s_mov_b32 s11, 0
.LBB18_665:
	s_and_b32 vcc_lo, exec_lo, s11
	s_cbranch_vccz .LBB18_705
; %bb.666:
	s_cmp_gt_i32 s8, 22
	s_mov_b32 s9, -1
	s_cbranch_scc0 .LBB18_698
; %bb.667:
	s_cmp_lt_i32 s8, 24
	s_cbranch_scc1 .LBB18_687
; %bb.668:
	s_cmp_gt_i32 s8, 24
	s_cbranch_scc0 .LBB18_676
; %bb.669:
	v_and_b32_e32 v4, 0x7fffffff, v32
	v_mov_b32_e32 v5, 0x80
	s_mov_b32 s9, exec_lo
	v_cmpx_gt_u32_e32 0x47800000, v4
	s_cbranch_execz .LBB18_675
; %bb.670:
	v_cmp_lt_u32_e32 vcc_lo, 0x37ffffff, v4
	s_mov_b32 s10, 0
                                        ; implicit-def: $vgpr4
	s_and_saveexec_b32 s11, vcc_lo
	s_xor_b32 s11, exec_lo, s11
	s_cbranch_execz .LBB18_997
; %bb.671:
	v_bfe_u32 v4, v32, 21, 1
	s_mov_b32 s10, exec_lo
	v_add3_u32 v4, v32, v4, 0x88fffff
	v_lshrrev_b32_e32 v4, 21, v4
	s_andn2_saveexec_b32 s11, s11
	s_cbranch_execnz .LBB18_998
.LBB18_672:
	s_or_b32 exec_lo, exec_lo, s11
	v_mov_b32_e32 v5, 0
	s_and_saveexec_b32 s11, s10
.LBB18_673:
	v_lshrrev_b32_e32 v5, 24, v32
	v_and_or_b32 v5, 0x80, v5, v4
.LBB18_674:
	s_or_b32 exec_lo, exec_lo, s11
.LBB18_675:
	s_or_b32 exec_lo, exec_lo, s9
	s_mov_b32 s9, 0
	global_store_byte v[1:2], v5, off
.LBB18_676:
	s_and_b32 vcc_lo, exec_lo, s9
	s_cbranch_vccz .LBB18_686
; %bb.677:
	v_and_b32_e32 v5, 0x7fffffff, v32
	s_mov_b32 s9, exec_lo
                                        ; implicit-def: $vgpr4
	v_cmpx_gt_u32_e32 0x43f00000, v5
	s_xor_b32 s9, exec_lo, s9
	s_cbranch_execz .LBB18_683
; %bb.678:
	s_mov_b32 s10, exec_lo
                                        ; implicit-def: $vgpr4
	v_cmpx_lt_u32_e32 0x3c7fffff, v5
	s_xor_b32 s10, exec_lo, s10
; %bb.679:
	v_bfe_u32 v4, v32, 20, 1
	v_add3_u32 v4, v32, v4, 0x407ffff
	v_and_b32_e32 v5, 0xff00000, v4
	v_lshrrev_b32_e32 v4, 20, v4
	v_cmp_ne_u32_e32 vcc_lo, 0x7f00000, v5
	v_cndmask_b32_e32 v4, 0x7e, v4, vcc_lo
; %bb.680:
	s_andn2_saveexec_b32 s10, s10
; %bb.681:
	v_add_f32_e64 v4, 0x46800000, |v32|
; %bb.682:
	s_or_b32 exec_lo, exec_lo, s10
                                        ; implicit-def: $vgpr5
.LBB18_683:
	s_andn2_saveexec_b32 s9, s9
; %bb.684:
	v_mov_b32_e32 v4, 0x7f
	v_cmp_lt_u32_e32 vcc_lo, 0x7f800000, v5
	v_cndmask_b32_e32 v4, 0x7e, v4, vcc_lo
; %bb.685:
	s_or_b32 exec_lo, exec_lo, s9
	v_lshrrev_b32_e32 v5, 24, v32
	v_and_or_b32 v4, 0x80, v5, v4
	global_store_byte v[1:2], v4, off
.LBB18_686:
	s_mov_b32 s9, 0
.LBB18_687:
	s_andn2_b32 vcc_lo, exec_lo, s9
	s_cbranch_vccnz .LBB18_697
; %bb.688:
	v_and_b32_e32 v5, 0x7fffffff, v32
	s_mov_b32 s9, exec_lo
                                        ; implicit-def: $vgpr4
	v_cmpx_gt_u32_e32 0x47800000, v5
	s_xor_b32 s9, exec_lo, s9
	s_cbranch_execz .LBB18_694
; %bb.689:
	s_mov_b32 s10, exec_lo
                                        ; implicit-def: $vgpr4
	v_cmpx_lt_u32_e32 0x387fffff, v5
	s_xor_b32 s10, exec_lo, s10
; %bb.690:
	v_bfe_u32 v4, v32, 21, 1
	v_add3_u32 v4, v32, v4, 0x80fffff
	v_lshrrev_b32_e32 v4, 21, v4
; %bb.691:
	s_andn2_saveexec_b32 s10, s10
; %bb.692:
	v_add_f32_e64 v4, 0x43000000, |v32|
; %bb.693:
	s_or_b32 exec_lo, exec_lo, s10
                                        ; implicit-def: $vgpr5
.LBB18_694:
	s_andn2_saveexec_b32 s9, s9
; %bb.695:
	v_mov_b32_e32 v4, 0x7f
	v_cmp_lt_u32_e32 vcc_lo, 0x7f800000, v5
	v_cndmask_b32_e32 v4, 0x7c, v4, vcc_lo
; %bb.696:
	s_or_b32 exec_lo, exec_lo, s9
	v_lshrrev_b32_e32 v5, 24, v32
	v_and_or_b32 v4, 0x80, v5, v4
	global_store_byte v[1:2], v4, off
.LBB18_697:
	s_mov_b32 s9, 0
	s_mov_b32 s10, -1
.LBB18_698:
	s_andn2_b32 vcc_lo, exec_lo, s9
	s_mov_b32 s9, 0
	s_cbranch_vccnz .LBB18_705
; %bb.699:
	s_cmp_gt_i32 s8, 14
	s_mov_b32 s9, -1
	s_cbranch_scc0 .LBB18_703
; %bb.700:
	s_cmp_eq_u32 s8, 15
	s_mov_b32 s4, -1
	s_cbranch_scc0 .LBB18_702
; %bb.701:
	v_bfe_u32 v4, v32, 16, 1
	v_cmp_o_f32_e32 vcc_lo, v32, v32
	v_mov_b32_e32 v5, 0x7fc0
	s_mov_b32 s4, 0
	s_mov_b32 s10, -1
	v_add3_u32 v4, v32, v4, 0x7fff
	v_cndmask_b32_sdwa v4, v5, v4, vcc_lo dst_sel:DWORD dst_unused:UNUSED_PAD src0_sel:DWORD src1_sel:WORD_1
	global_store_short v[1:2], v4, off
.LBB18_702:
	s_mov_b32 s9, 0
.LBB18_703:
	s_and_b32 vcc_lo, exec_lo, s9
	s_mov_b32 s9, 0
	s_cbranch_vccz .LBB18_705
; %bb.704:
	s_cmp_lg_u32 s8, 11
	s_mov_b32 s9, -1
	s_cselect_b32 s4, -1, 0
.LBB18_705:
	s_and_b32 vcc_lo, exec_lo, s4
	s_cbranch_vccnz .LBB18_996
; %bb.706:
	s_andn2_b32 vcc_lo, exec_lo, s9
	s_cbranch_vccnz .LBB18_708
.LBB18_707:
	v_cmp_neq_f32_e32 vcc_lo, 0, v32
	s_mov_b32 s10, -1
	v_cndmask_b32_e64 v4, 0, 1, vcc_lo
	global_store_byte v[1:2], v4, off
.LBB18_708:
.LBB18_709:
	s_andn2_b32 vcc_lo, exec_lo, s10
	s_cbranch_vccz .LBB18_749
	s_branch .LBB18_943
.LBB18_710:
	s_mov_b32 s10, 0
	s_cbranch_execz .LBB18_709
; %bb.711:
	s_and_b32 s4, 0xffff, s5
	s_mov_b32 s8, -1
	s_cmp_lt_i32 s4, 5
	s_cbranch_scc1 .LBB18_732
; %bb.712:
	s_cmp_lt_i32 s4, 8
	s_cbranch_scc1 .LBB18_722
; %bb.713:
	;; [unrolled: 3-line block ×3, first 2 shown]
	s_cmp_gt_i32 s4, 9
	s_cbranch_scc0 .LBB18_716
; %bb.715:
	v_cvt_f64_f32_e32 v[4:5], v32
	v_mov_b32_e32 v6, 0
	s_mov_b32 s8, 0
	v_mov_b32_e32 v7, v6
	global_store_dwordx4 v[1:2], v[4:7], off
.LBB18_716:
	s_andn2_b32 vcc_lo, exec_lo, s8
	s_cbranch_vccnz .LBB18_718
; %bb.717:
	v_mov_b32_e32 v33, 0
	global_store_dwordx2 v[1:2], v[32:33], off
.LBB18_718:
	s_mov_b32 s8, 0
.LBB18_719:
	s_andn2_b32 vcc_lo, exec_lo, s8
	s_cbranch_vccnz .LBB18_721
; %bb.720:
	v_cvt_f16_f32_e32 v4, v32
	v_and_b32_e32 v4, 0xffff, v4
	global_store_dword v[1:2], v4, off
.LBB18_721:
	s_mov_b32 s8, 0
.LBB18_722:
	s_andn2_b32 vcc_lo, exec_lo, s8
	s_cbranch_vccnz .LBB18_731
; %bb.723:
	s_cmp_lt_i32 s4, 6
	s_mov_b32 s8, -1
	s_cbranch_scc1 .LBB18_729
; %bb.724:
	s_cmp_gt_i32 s4, 6
	s_cbranch_scc0 .LBB18_726
; %bb.725:
	v_cvt_f64_f32_e32 v[4:5], v32
	s_mov_b32 s8, 0
	global_store_dwordx2 v[1:2], v[4:5], off
.LBB18_726:
	s_andn2_b32 vcc_lo, exec_lo, s8
	s_cbranch_vccnz .LBB18_728
; %bb.727:
	global_store_dword v[1:2], v32, off
.LBB18_728:
	s_mov_b32 s8, 0
.LBB18_729:
	s_andn2_b32 vcc_lo, exec_lo, s8
	s_cbranch_vccnz .LBB18_731
; %bb.730:
	v_cvt_f16_f32_e32 v4, v32
	global_store_short v[1:2], v4, off
.LBB18_731:
	s_mov_b32 s8, 0
.LBB18_732:
	s_andn2_b32 vcc_lo, exec_lo, s8
	s_cbranch_vccnz .LBB18_748
; %bb.733:
	s_cmp_lt_i32 s4, 2
	s_mov_b32 s8, -1
	s_cbranch_scc1 .LBB18_743
; %bb.734:
	s_cmp_lt_i32 s4, 3
	s_cbranch_scc1 .LBB18_740
; %bb.735:
	s_cmp_gt_i32 s4, 3
	s_cbranch_scc0 .LBB18_737
; %bb.736:
	v_trunc_f32_e32 v4, v32
	s_mov_b32 s8, 0
	v_mul_f32_e64 v5, 0x2f800000, |v4|
	v_ashrrev_i32_e32 v7, 31, v4
	v_floor_f32_e32 v5, v5
	v_fma_f32 v6, 0xcf800000, v5, |v4|
	v_cvt_u32_f32_e32 v5, v5
	v_cvt_u32_f32_e32 v4, v6
	v_xor_b32_e32 v5, v5, v7
	v_xor_b32_e32 v4, v4, v7
	v_sub_co_u32 v4, vcc_lo, v4, v7
	v_sub_co_ci_u32_e64 v5, null, v5, v7, vcc_lo
	global_store_dwordx2 v[1:2], v[4:5], off
.LBB18_737:
	s_andn2_b32 vcc_lo, exec_lo, s8
	s_cbranch_vccnz .LBB18_739
; %bb.738:
	v_cvt_i32_f32_e32 v4, v32
	global_store_dword v[1:2], v4, off
.LBB18_739:
	s_mov_b32 s8, 0
.LBB18_740:
	s_andn2_b32 vcc_lo, exec_lo, s8
	s_cbranch_vccnz .LBB18_742
; %bb.741:
	v_cvt_i32_f32_e32 v4, v32
	global_store_short v[1:2], v4, off
.LBB18_742:
	s_mov_b32 s8, 0
.LBB18_743:
	s_andn2_b32 vcc_lo, exec_lo, s8
	s_cbranch_vccnz .LBB18_748
; %bb.744:
	s_cmp_gt_i32 s4, 0
	s_mov_b32 s4, -1
	s_cbranch_scc0 .LBB18_746
; %bb.745:
	v_cvt_i32_f32_e32 v4, v32
	s_mov_b32 s4, 0
	global_store_byte v[1:2], v4, off
.LBB18_746:
	s_andn2_b32 vcc_lo, exec_lo, s4
	s_cbranch_vccnz .LBB18_748
; %bb.747:
	v_trunc_f32_e32 v4, v32
	v_mul_f32_e64 v5, 0x2f800000, |v4|
	v_floor_f32_e32 v5, v5
	v_fma_f32 v5, 0xcf800000, v5, |v4|
	v_ashrrev_i32_e32 v4, 31, v4
	v_cvt_u32_f32_e32 v5, v5
	v_xor_b32_e32 v5, v5, v4
	v_sub_nc_u32_e32 v4, v5, v4
	global_store_byte v[1:2], v4, off
.LBB18_748:
.LBB18_749:
	v_add_nc_u32_e32 v3, s7, v3
	s_cmp_lt_i32 s5, 11
	v_ashrrev_i32_e32 v2, 31, v3
	v_add_co_u32 v1, vcc_lo, s16, v3
	v_add_co_ci_u32_e64 v2, null, s17, v2, vcc_lo
	s_cbranch_scc1 .LBB18_904
; %bb.750:
	s_and_b32 s8, 0xffff, s5
	s_mov_b32 s11, -1
	s_mov_b32 s9, 0
	s_cmp_gt_i32 s8, 25
	s_mov_b32 s10, 0
	s_mov_b32 s4, 0
	s_cbranch_scc0 .LBB18_783
; %bb.751:
	s_cmp_gt_i32 s8, 28
	s_cbranch_scc0 .LBB18_766
; %bb.752:
	s_cmp_gt_i32 s8, 43
	;; [unrolled: 3-line block ×3, first 2 shown]
	s_cbranch_scc0 .LBB18_756
; %bb.754:
	s_mov_b32 s4, -1
	s_mov_b32 s11, 0
	s_cmp_eq_u32 s8, 46
	s_cbranch_scc0 .LBB18_756
; %bb.755:
	v_bfe_u32 v4, v31, 16, 1
	v_cmp_o_f32_e32 vcc_lo, v31, v31
	v_mov_b32_e32 v5, 0x7fc0
	s_mov_b32 s4, 0
	s_mov_b32 s10, -1
	v_add3_u32 v4, v31, v4, 0x7fff
	v_cndmask_b32_sdwa v4, v5, v4, vcc_lo dst_sel:DWORD dst_unused:UNUSED_PAD src0_sel:DWORD src1_sel:WORD_1
	global_store_dword v[1:2], v4, off
.LBB18_756:
	s_and_b32 vcc_lo, exec_lo, s11
	s_cbranch_vccz .LBB18_761
; %bb.757:
	s_cmp_eq_u32 s8, 44
	s_mov_b32 s4, -1
	s_cbranch_scc0 .LBB18_761
; %bb.758:
	v_bfe_u32 v5, v31, 23, 8
	v_mov_b32_e32 v4, 0xff
	s_mov_b32 s10, exec_lo
	v_cmpx_ne_u32_e32 0xff, v5
	s_cbranch_execz .LBB18_760
; %bb.759:
	v_and_b32_e32 v4, 0x400000, v31
	v_and_or_b32 v5, 0x3fffff, v31, v5
	v_cmp_ne_u32_e32 vcc_lo, 0, v4
	v_cmp_ne_u32_e64 s4, 0, v5
	v_lshrrev_b32_e32 v4, 23, v31
	s_and_b32 s4, vcc_lo, s4
	v_cndmask_b32_e64 v5, 0, 1, s4
	v_add_nc_u32_e32 v4, v4, v5
.LBB18_760:
	s_or_b32 exec_lo, exec_lo, s10
	s_mov_b32 s4, 0
	s_mov_b32 s10, -1
	global_store_byte v[1:2], v4, off
.LBB18_761:
	s_mov_b32 s11, 0
.LBB18_762:
	s_and_b32 vcc_lo, exec_lo, s11
	s_cbranch_vccz .LBB18_765
; %bb.763:
	s_cmp_eq_u32 s8, 29
	s_mov_b32 s4, -1
	s_cbranch_scc0 .LBB18_765
; %bb.764:
	v_trunc_f32_e32 v4, v31
	s_mov_b32 s4, 0
	s_mov_b32 s10, -1
	v_mul_f32_e32 v5, 0x2f800000, v4
	v_floor_f32_e32 v5, v5
	v_fmamk_f32 v4, v5, 0xcf800000, v4
	v_cvt_u32_f32_e32 v5, v5
	v_cvt_u32_f32_e32 v4, v4
	global_store_dwordx2 v[1:2], v[4:5], off
.LBB18_765:
	s_mov_b32 s11, 0
.LBB18_766:
	s_and_b32 vcc_lo, exec_lo, s11
	s_cbranch_vccz .LBB18_782
; %bb.767:
	s_cmp_lt_i32 s8, 27
	s_mov_b32 s10, -1
	s_cbranch_scc1 .LBB18_773
; %bb.768:
	v_cvt_u32_f32_e32 v4, v31
	s_cmp_gt_i32 s8, 27
	s_cbranch_scc0 .LBB18_770
; %bb.769:
	s_mov_b32 s10, 0
	global_store_dword v[1:2], v4, off
.LBB18_770:
	s_andn2_b32 vcc_lo, exec_lo, s10
	s_cbranch_vccnz .LBB18_772
; %bb.771:
	global_store_short v[1:2], v4, off
.LBB18_772:
	s_mov_b32 s10, 0
.LBB18_773:
	s_andn2_b32 vcc_lo, exec_lo, s10
	s_cbranch_vccnz .LBB18_781
; %bb.774:
	v_and_b32_e32 v4, 0x7fffffff, v31
	v_mov_b32_e32 v5, 0x80
	s_mov_b32 s10, exec_lo
	v_cmpx_gt_u32_e32 0x43800000, v4
	s_cbranch_execz .LBB18_780
; %bb.775:
	v_cmp_lt_u32_e32 vcc_lo, 0x3bffffff, v4
	s_mov_b32 s11, 0
                                        ; implicit-def: $vgpr4
	s_and_saveexec_b32 s12, vcc_lo
	s_xor_b32 s12, exec_lo, s12
	s_cbranch_execz .LBB18_999
; %bb.776:
	v_bfe_u32 v4, v31, 20, 1
	s_mov_b32 s11, exec_lo
	v_add3_u32 v4, v31, v4, 0x487ffff
	v_lshrrev_b32_e32 v4, 20, v4
	s_andn2_saveexec_b32 s12, s12
	s_cbranch_execnz .LBB18_1000
.LBB18_777:
	s_or_b32 exec_lo, exec_lo, s12
	v_mov_b32_e32 v5, 0
	s_and_saveexec_b32 s12, s11
.LBB18_778:
	v_lshrrev_b32_e32 v5, 24, v31
	v_and_or_b32 v5, 0x80, v5, v4
.LBB18_779:
	s_or_b32 exec_lo, exec_lo, s12
.LBB18_780:
	s_or_b32 exec_lo, exec_lo, s10
	global_store_byte v[1:2], v5, off
.LBB18_781:
	s_mov_b32 s10, -1
.LBB18_782:
	s_mov_b32 s11, 0
.LBB18_783:
	s_and_b32 vcc_lo, exec_lo, s11
	s_cbranch_vccz .LBB18_823
; %bb.784:
	s_cmp_gt_i32 s8, 22
	s_mov_b32 s9, -1
	s_cbranch_scc0 .LBB18_816
; %bb.785:
	s_cmp_lt_i32 s8, 24
	s_cbranch_scc1 .LBB18_805
; %bb.786:
	s_cmp_gt_i32 s8, 24
	s_cbranch_scc0 .LBB18_794
; %bb.787:
	v_and_b32_e32 v4, 0x7fffffff, v31
	v_mov_b32_e32 v5, 0x80
	s_mov_b32 s9, exec_lo
	v_cmpx_gt_u32_e32 0x47800000, v4
	s_cbranch_execz .LBB18_793
; %bb.788:
	v_cmp_lt_u32_e32 vcc_lo, 0x37ffffff, v4
	s_mov_b32 s10, 0
                                        ; implicit-def: $vgpr4
	s_and_saveexec_b32 s11, vcc_lo
	s_xor_b32 s11, exec_lo, s11
	s_cbranch_execz .LBB18_1002
; %bb.789:
	v_bfe_u32 v4, v31, 21, 1
	s_mov_b32 s10, exec_lo
	v_add3_u32 v4, v31, v4, 0x88fffff
	v_lshrrev_b32_e32 v4, 21, v4
	s_andn2_saveexec_b32 s11, s11
	s_cbranch_execnz .LBB18_1003
.LBB18_790:
	s_or_b32 exec_lo, exec_lo, s11
	v_mov_b32_e32 v5, 0
	s_and_saveexec_b32 s11, s10
.LBB18_791:
	v_lshrrev_b32_e32 v5, 24, v31
	v_and_or_b32 v5, 0x80, v5, v4
.LBB18_792:
	s_or_b32 exec_lo, exec_lo, s11
.LBB18_793:
	s_or_b32 exec_lo, exec_lo, s9
	s_mov_b32 s9, 0
	global_store_byte v[1:2], v5, off
.LBB18_794:
	s_and_b32 vcc_lo, exec_lo, s9
	s_cbranch_vccz .LBB18_804
; %bb.795:
	v_and_b32_e32 v5, 0x7fffffff, v31
	s_mov_b32 s9, exec_lo
                                        ; implicit-def: $vgpr4
	v_cmpx_gt_u32_e32 0x43f00000, v5
	s_xor_b32 s9, exec_lo, s9
	s_cbranch_execz .LBB18_801
; %bb.796:
	s_mov_b32 s10, exec_lo
                                        ; implicit-def: $vgpr4
	v_cmpx_lt_u32_e32 0x3c7fffff, v5
	s_xor_b32 s10, exec_lo, s10
; %bb.797:
	v_bfe_u32 v4, v31, 20, 1
	v_add3_u32 v4, v31, v4, 0x407ffff
	v_and_b32_e32 v5, 0xff00000, v4
	v_lshrrev_b32_e32 v4, 20, v4
	v_cmp_ne_u32_e32 vcc_lo, 0x7f00000, v5
	v_cndmask_b32_e32 v4, 0x7e, v4, vcc_lo
; %bb.798:
	s_andn2_saveexec_b32 s10, s10
; %bb.799:
	v_add_f32_e64 v4, 0x46800000, |v31|
; %bb.800:
	s_or_b32 exec_lo, exec_lo, s10
                                        ; implicit-def: $vgpr5
.LBB18_801:
	s_andn2_saveexec_b32 s9, s9
; %bb.802:
	v_mov_b32_e32 v4, 0x7f
	v_cmp_lt_u32_e32 vcc_lo, 0x7f800000, v5
	v_cndmask_b32_e32 v4, 0x7e, v4, vcc_lo
; %bb.803:
	s_or_b32 exec_lo, exec_lo, s9
	v_lshrrev_b32_e32 v5, 24, v31
	v_and_or_b32 v4, 0x80, v5, v4
	global_store_byte v[1:2], v4, off
.LBB18_804:
	s_mov_b32 s9, 0
.LBB18_805:
	s_andn2_b32 vcc_lo, exec_lo, s9
	s_cbranch_vccnz .LBB18_815
; %bb.806:
	v_and_b32_e32 v5, 0x7fffffff, v31
	s_mov_b32 s9, exec_lo
                                        ; implicit-def: $vgpr4
	v_cmpx_gt_u32_e32 0x47800000, v5
	s_xor_b32 s9, exec_lo, s9
	s_cbranch_execz .LBB18_812
; %bb.807:
	s_mov_b32 s10, exec_lo
                                        ; implicit-def: $vgpr4
	v_cmpx_lt_u32_e32 0x387fffff, v5
	s_xor_b32 s10, exec_lo, s10
; %bb.808:
	v_bfe_u32 v4, v31, 21, 1
	v_add3_u32 v4, v31, v4, 0x80fffff
	v_lshrrev_b32_e32 v4, 21, v4
; %bb.809:
	s_andn2_saveexec_b32 s10, s10
; %bb.810:
	v_add_f32_e64 v4, 0x43000000, |v31|
; %bb.811:
	s_or_b32 exec_lo, exec_lo, s10
                                        ; implicit-def: $vgpr5
.LBB18_812:
	s_andn2_saveexec_b32 s9, s9
; %bb.813:
	v_mov_b32_e32 v4, 0x7f
	v_cmp_lt_u32_e32 vcc_lo, 0x7f800000, v5
	v_cndmask_b32_e32 v4, 0x7c, v4, vcc_lo
; %bb.814:
	s_or_b32 exec_lo, exec_lo, s9
	v_lshrrev_b32_e32 v5, 24, v31
	v_and_or_b32 v4, 0x80, v5, v4
	global_store_byte v[1:2], v4, off
.LBB18_815:
	s_mov_b32 s9, 0
	s_mov_b32 s10, -1
.LBB18_816:
	s_andn2_b32 vcc_lo, exec_lo, s9
	s_mov_b32 s9, 0
	s_cbranch_vccnz .LBB18_823
; %bb.817:
	s_cmp_gt_i32 s8, 14
	s_mov_b32 s9, -1
	s_cbranch_scc0 .LBB18_821
; %bb.818:
	s_cmp_eq_u32 s8, 15
	s_mov_b32 s4, -1
	s_cbranch_scc0 .LBB18_820
; %bb.819:
	v_bfe_u32 v4, v31, 16, 1
	v_cmp_o_f32_e32 vcc_lo, v31, v31
	v_mov_b32_e32 v5, 0x7fc0
	s_mov_b32 s4, 0
	s_mov_b32 s10, -1
	v_add3_u32 v4, v31, v4, 0x7fff
	v_cndmask_b32_sdwa v4, v5, v4, vcc_lo dst_sel:DWORD dst_unused:UNUSED_PAD src0_sel:DWORD src1_sel:WORD_1
	global_store_short v[1:2], v4, off
.LBB18_820:
	s_mov_b32 s9, 0
.LBB18_821:
	s_and_b32 vcc_lo, exec_lo, s9
	s_mov_b32 s9, 0
	s_cbranch_vccz .LBB18_823
; %bb.822:
	s_cmp_lg_u32 s8, 11
	s_mov_b32 s9, -1
	s_cselect_b32 s4, -1, 0
.LBB18_823:
	s_and_b32 vcc_lo, exec_lo, s4
	s_cbranch_vccnz .LBB18_1001
; %bb.824:
	s_andn2_b32 vcc_lo, exec_lo, s9
	s_cbranch_vccnz .LBB18_826
.LBB18_825:
	v_cmp_neq_f32_e32 vcc_lo, 0, v31
	s_mov_b32 s10, -1
	v_cndmask_b32_e64 v4, 0, 1, vcc_lo
	global_store_byte v[1:2], v4, off
.LBB18_826:
.LBB18_827:
	s_andn2_b32 vcc_lo, exec_lo, s10
	s_cbranch_vccnz .LBB18_943
.LBB18_828:
	v_add_nc_u32_e32 v1, s7, v3
	s_cmp_lt_i32 s5, 11
	v_ashrrev_i32_e32 v3, 31, v1
	v_add_co_u32 v2, vcc_lo, s16, v1
	v_add_co_ci_u32_e64 v3, null, s17, v3, vcc_lo
	s_cbranch_scc1 .LBB18_988
; %bb.829:
	s_and_b32 s7, 0xffff, s5
	s_mov_b32 s9, -1
	s_mov_b32 s8, 0
	s_cmp_gt_i32 s7, 25
	s_mov_b32 s4, 0
	s_cbranch_scc0 .LBB18_862
; %bb.830:
	s_cmp_gt_i32 s7, 28
	s_cbranch_scc0 .LBB18_846
; %bb.831:
	s_cmp_gt_i32 s7, 43
	;; [unrolled: 3-line block ×3, first 2 shown]
	s_cbranch_scc0 .LBB18_836
; %bb.833:
	s_cmp_eq_u32 s7, 46
	s_mov_b32 s4, -1
	s_cbranch_scc0 .LBB18_835
; %bb.834:
	v_bfe_u32 v1, v0, 16, 1
	v_cmp_o_f32_e32 vcc_lo, v0, v0
	v_mov_b32_e32 v4, 0x7fc0
	s_mov_b32 s4, 0
	v_add3_u32 v1, v0, v1, 0x7fff
	v_cndmask_b32_sdwa v1, v4, v1, vcc_lo dst_sel:DWORD dst_unused:UNUSED_PAD src0_sel:DWORD src1_sel:WORD_1
	global_store_dword v[2:3], v1, off
.LBB18_835:
	s_mov_b32 s9, 0
.LBB18_836:
	s_and_b32 vcc_lo, exec_lo, s9
	s_cbranch_vccz .LBB18_841
; %bb.837:
	s_cmp_eq_u32 s7, 44
	s_mov_b32 s4, -1
	s_cbranch_scc0 .LBB18_841
; %bb.838:
	v_bfe_u32 v4, v0, 23, 8
	v_mov_b32_e32 v1, 0xff
	s_mov_b32 s9, exec_lo
	v_cmpx_ne_u32_e32 0xff, v4
	s_cbranch_execz .LBB18_840
; %bb.839:
	v_and_b32_e32 v1, 0x400000, v0
	v_and_or_b32 v4, 0x3fffff, v0, v4
	v_cmp_ne_u32_e32 vcc_lo, 0, v1
	v_cmp_ne_u32_e64 s4, 0, v4
	v_lshrrev_b32_e32 v1, 23, v0
	s_and_b32 s4, vcc_lo, s4
	v_cndmask_b32_e64 v4, 0, 1, s4
	v_add_nc_u32_e32 v1, v1, v4
.LBB18_840:
	s_or_b32 exec_lo, exec_lo, s9
	s_mov_b32 s4, 0
	global_store_byte v[2:3], v1, off
.LBB18_841:
	s_mov_b32 s9, 0
.LBB18_842:
	s_and_b32 vcc_lo, exec_lo, s9
	s_cbranch_vccz .LBB18_845
; %bb.843:
	s_cmp_eq_u32 s7, 29
	s_mov_b32 s4, -1
	s_cbranch_scc0 .LBB18_845
; %bb.844:
	v_trunc_f32_e32 v1, v0
	s_mov_b32 s4, 0
	v_mul_f32_e32 v4, 0x2f800000, v1
	v_floor_f32_e32 v4, v4
	v_fmamk_f32 v1, v4, 0xcf800000, v1
	v_cvt_u32_f32_e32 v5, v4
	v_cvt_u32_f32_e32 v4, v1
	global_store_dwordx2 v[2:3], v[4:5], off
.LBB18_845:
	s_mov_b32 s9, 0
.LBB18_846:
	s_and_b32 vcc_lo, exec_lo, s9
	s_cbranch_vccz .LBB18_861
; %bb.847:
	s_cmp_lt_i32 s7, 27
	s_mov_b32 s9, -1
	s_cbranch_scc1 .LBB18_853
; %bb.848:
	v_cvt_u32_f32_e32 v1, v0
	s_cmp_gt_i32 s7, 27
	s_cbranch_scc0 .LBB18_850
; %bb.849:
	s_mov_b32 s9, 0
	global_store_dword v[2:3], v1, off
.LBB18_850:
	s_andn2_b32 vcc_lo, exec_lo, s9
	s_cbranch_vccnz .LBB18_852
; %bb.851:
	global_store_short v[2:3], v1, off
.LBB18_852:
	s_mov_b32 s9, 0
.LBB18_853:
	s_andn2_b32 vcc_lo, exec_lo, s9
	s_cbranch_vccnz .LBB18_861
; %bb.854:
	v_and_b32_e32 v1, 0x7fffffff, v0
	v_mov_b32_e32 v4, 0x80
	s_mov_b32 s9, exec_lo
	v_cmpx_gt_u32_e32 0x43800000, v1
	s_cbranch_execz .LBB18_860
; %bb.855:
	v_cmp_lt_u32_e32 vcc_lo, 0x3bffffff, v1
	s_mov_b32 s10, 0
                                        ; implicit-def: $vgpr1
	s_and_saveexec_b32 s11, vcc_lo
	s_xor_b32 s11, exec_lo, s11
	s_cbranch_execz .LBB18_1004
; %bb.856:
	v_bfe_u32 v1, v0, 20, 1
	s_mov_b32 s10, exec_lo
	v_add3_u32 v1, v0, v1, 0x487ffff
	v_lshrrev_b32_e32 v1, 20, v1
	s_andn2_saveexec_b32 s11, s11
	s_cbranch_execnz .LBB18_1005
.LBB18_857:
	s_or_b32 exec_lo, exec_lo, s11
	v_mov_b32_e32 v4, 0
	s_and_saveexec_b32 s11, s10
.LBB18_858:
	v_lshrrev_b32_e32 v4, 24, v0
	v_and_or_b32 v4, 0x80, v4, v1
.LBB18_859:
	s_or_b32 exec_lo, exec_lo, s11
.LBB18_860:
	s_or_b32 exec_lo, exec_lo, s9
	global_store_byte v[2:3], v4, off
.LBB18_861:
	s_mov_b32 s9, 0
.LBB18_862:
	s_and_b32 vcc_lo, exec_lo, s9
	s_cbranch_vccz .LBB18_902
; %bb.863:
	s_cmp_gt_i32 s7, 22
	s_mov_b32 s8, -1
	s_cbranch_scc0 .LBB18_895
; %bb.864:
	s_cmp_lt_i32 s7, 24
	s_cbranch_scc1 .LBB18_884
; %bb.865:
	s_cmp_gt_i32 s7, 24
	s_cbranch_scc0 .LBB18_873
; %bb.866:
	v_and_b32_e32 v1, 0x7fffffff, v0
	v_mov_b32_e32 v4, 0x80
	s_mov_b32 s8, exec_lo
	v_cmpx_gt_u32_e32 0x47800000, v1
	s_cbranch_execz .LBB18_872
; %bb.867:
	v_cmp_lt_u32_e32 vcc_lo, 0x37ffffff, v1
	s_mov_b32 s9, 0
                                        ; implicit-def: $vgpr1
	s_and_saveexec_b32 s10, vcc_lo
	s_xor_b32 s10, exec_lo, s10
	s_cbranch_execz .LBB18_1009
; %bb.868:
	v_bfe_u32 v1, v0, 21, 1
	s_mov_b32 s9, exec_lo
	v_add3_u32 v1, v0, v1, 0x88fffff
	v_lshrrev_b32_e32 v1, 21, v1
	s_andn2_saveexec_b32 s10, s10
	s_cbranch_execnz .LBB18_1010
.LBB18_869:
	s_or_b32 exec_lo, exec_lo, s10
	v_mov_b32_e32 v4, 0
	s_and_saveexec_b32 s10, s9
.LBB18_870:
	v_lshrrev_b32_e32 v4, 24, v0
	v_and_or_b32 v4, 0x80, v4, v1
.LBB18_871:
	s_or_b32 exec_lo, exec_lo, s10
.LBB18_872:
	s_or_b32 exec_lo, exec_lo, s8
	s_mov_b32 s8, 0
	global_store_byte v[2:3], v4, off
.LBB18_873:
	s_and_b32 vcc_lo, exec_lo, s8
	s_cbranch_vccz .LBB18_883
; %bb.874:
	v_and_b32_e32 v4, 0x7fffffff, v0
	s_mov_b32 s8, exec_lo
                                        ; implicit-def: $vgpr1
	v_cmpx_gt_u32_e32 0x43f00000, v4
	s_xor_b32 s8, exec_lo, s8
	s_cbranch_execz .LBB18_880
; %bb.875:
	s_mov_b32 s9, exec_lo
                                        ; implicit-def: $vgpr1
	v_cmpx_lt_u32_e32 0x3c7fffff, v4
	s_xor_b32 s9, exec_lo, s9
; %bb.876:
	v_bfe_u32 v1, v0, 20, 1
	v_add3_u32 v1, v0, v1, 0x407ffff
	v_and_b32_e32 v4, 0xff00000, v1
	v_lshrrev_b32_e32 v1, 20, v1
	v_cmp_ne_u32_e32 vcc_lo, 0x7f00000, v4
	v_cndmask_b32_e32 v1, 0x7e, v1, vcc_lo
; %bb.877:
	s_andn2_saveexec_b32 s9, s9
; %bb.878:
	v_add_f32_e64 v1, 0x46800000, |v0|
; %bb.879:
	s_or_b32 exec_lo, exec_lo, s9
                                        ; implicit-def: $vgpr4
.LBB18_880:
	s_andn2_saveexec_b32 s8, s8
; %bb.881:
	v_mov_b32_e32 v1, 0x7f
	v_cmp_lt_u32_e32 vcc_lo, 0x7f800000, v4
	v_cndmask_b32_e32 v1, 0x7e, v1, vcc_lo
; %bb.882:
	s_or_b32 exec_lo, exec_lo, s8
	v_lshrrev_b32_e32 v4, 24, v0
	v_and_or_b32 v1, 0x80, v4, v1
	global_store_byte v[2:3], v1, off
.LBB18_883:
	s_mov_b32 s8, 0
.LBB18_884:
	s_andn2_b32 vcc_lo, exec_lo, s8
	s_cbranch_vccnz .LBB18_894
; %bb.885:
	v_and_b32_e32 v4, 0x7fffffff, v0
	s_mov_b32 s8, exec_lo
                                        ; implicit-def: $vgpr1
	v_cmpx_gt_u32_e32 0x47800000, v4
	s_xor_b32 s8, exec_lo, s8
	s_cbranch_execz .LBB18_891
; %bb.886:
	s_mov_b32 s9, exec_lo
                                        ; implicit-def: $vgpr1
	v_cmpx_lt_u32_e32 0x387fffff, v4
	s_xor_b32 s9, exec_lo, s9
; %bb.887:
	v_bfe_u32 v1, v0, 21, 1
	v_add3_u32 v1, v0, v1, 0x80fffff
	v_lshrrev_b32_e32 v1, 21, v1
; %bb.888:
	s_andn2_saveexec_b32 s9, s9
; %bb.889:
	v_add_f32_e64 v1, 0x43000000, |v0|
; %bb.890:
	s_or_b32 exec_lo, exec_lo, s9
                                        ; implicit-def: $vgpr4
.LBB18_891:
	s_andn2_saveexec_b32 s8, s8
; %bb.892:
	v_mov_b32_e32 v1, 0x7f
	v_cmp_lt_u32_e32 vcc_lo, 0x7f800000, v4
	v_cndmask_b32_e32 v1, 0x7c, v1, vcc_lo
; %bb.893:
	s_or_b32 exec_lo, exec_lo, s8
	v_lshrrev_b32_e32 v4, 24, v0
	v_and_or_b32 v1, 0x80, v4, v1
	global_store_byte v[2:3], v1, off
.LBB18_894:
	s_mov_b32 s8, 0
.LBB18_895:
	s_andn2_b32 vcc_lo, exec_lo, s8
	s_mov_b32 s8, 0
	s_cbranch_vccnz .LBB18_902
; %bb.896:
	s_cmp_gt_i32 s7, 14
	s_mov_b32 s8, -1
	s_cbranch_scc0 .LBB18_900
; %bb.897:
	s_cmp_eq_u32 s7, 15
	s_mov_b32 s4, -1
	s_cbranch_scc0 .LBB18_899
; %bb.898:
	v_bfe_u32 v1, v0, 16, 1
	v_cmp_o_f32_e32 vcc_lo, v0, v0
	v_mov_b32_e32 v4, 0x7fc0
	s_mov_b32 s4, 0
	v_add3_u32 v1, v0, v1, 0x7fff
	v_cndmask_b32_sdwa v1, v4, v1, vcc_lo dst_sel:DWORD dst_unused:UNUSED_PAD src0_sel:DWORD src1_sel:WORD_1
	global_store_short v[2:3], v1, off
.LBB18_899:
	s_mov_b32 s8, 0
.LBB18_900:
	s_and_b32 vcc_lo, exec_lo, s8
	s_mov_b32 s8, 0
	s_cbranch_vccz .LBB18_902
; %bb.901:
	s_cmp_lg_u32 s7, 11
	s_mov_b32 s8, -1
	s_cselect_b32 s4, -1, 0
.LBB18_902:
	s_and_b32 vcc_lo, exec_lo, s4
	s_cbranch_vccnz .LBB18_1006
.LBB18_903:
	s_mov_b32 s4, 0
	s_branch .LBB18_944
.LBB18_904:
	s_mov_b32 s10, 0
	s_cbranch_execz .LBB18_827
; %bb.905:
	s_and_b32 s4, 0xffff, s5
	s_mov_b32 s8, -1
	s_cmp_lt_i32 s4, 5
	s_cbranch_scc1 .LBB18_926
; %bb.906:
	s_cmp_lt_i32 s4, 8
	s_cbranch_scc1 .LBB18_916
; %bb.907:
	;; [unrolled: 3-line block ×3, first 2 shown]
	s_cmp_gt_i32 s4, 9
	s_cbranch_scc0 .LBB18_910
; %bb.909:
	v_cvt_f64_f32_e32 v[4:5], v31
	v_mov_b32_e32 v6, 0
	s_mov_b32 s8, 0
	v_mov_b32_e32 v7, v6
	global_store_dwordx4 v[1:2], v[4:7], off
.LBB18_910:
	s_andn2_b32 vcc_lo, exec_lo, s8
	s_cbranch_vccnz .LBB18_912
; %bb.911:
	v_mov_b32_e32 v32, 0
	global_store_dwordx2 v[1:2], v[31:32], off
.LBB18_912:
	s_mov_b32 s8, 0
.LBB18_913:
	s_andn2_b32 vcc_lo, exec_lo, s8
	s_cbranch_vccnz .LBB18_915
; %bb.914:
	v_cvt_f16_f32_e32 v4, v31
	v_and_b32_e32 v4, 0xffff, v4
	global_store_dword v[1:2], v4, off
.LBB18_915:
	s_mov_b32 s8, 0
.LBB18_916:
	s_andn2_b32 vcc_lo, exec_lo, s8
	s_cbranch_vccnz .LBB18_925
; %bb.917:
	s_cmp_lt_i32 s4, 6
	s_mov_b32 s8, -1
	s_cbranch_scc1 .LBB18_923
; %bb.918:
	s_cmp_gt_i32 s4, 6
	s_cbranch_scc0 .LBB18_920
; %bb.919:
	v_cvt_f64_f32_e32 v[4:5], v31
	s_mov_b32 s8, 0
	global_store_dwordx2 v[1:2], v[4:5], off
.LBB18_920:
	s_andn2_b32 vcc_lo, exec_lo, s8
	s_cbranch_vccnz .LBB18_922
; %bb.921:
	global_store_dword v[1:2], v31, off
.LBB18_922:
	s_mov_b32 s8, 0
.LBB18_923:
	s_andn2_b32 vcc_lo, exec_lo, s8
	s_cbranch_vccnz .LBB18_925
; %bb.924:
	v_cvt_f16_f32_e32 v4, v31
	global_store_short v[1:2], v4, off
.LBB18_925:
	s_mov_b32 s8, 0
.LBB18_926:
	s_andn2_b32 vcc_lo, exec_lo, s8
	s_cbranch_vccnz .LBB18_942
; %bb.927:
	s_cmp_lt_i32 s4, 2
	s_mov_b32 s8, -1
	s_cbranch_scc1 .LBB18_937
; %bb.928:
	s_cmp_lt_i32 s4, 3
	s_cbranch_scc1 .LBB18_934
; %bb.929:
	s_cmp_gt_i32 s4, 3
	s_cbranch_scc0 .LBB18_931
; %bb.930:
	v_trunc_f32_e32 v4, v31
	s_mov_b32 s8, 0
	v_mul_f32_e64 v5, 0x2f800000, |v4|
	v_ashrrev_i32_e32 v7, 31, v4
	v_floor_f32_e32 v5, v5
	v_fma_f32 v6, 0xcf800000, v5, |v4|
	v_cvt_u32_f32_e32 v5, v5
	v_cvt_u32_f32_e32 v4, v6
	v_xor_b32_e32 v5, v5, v7
	v_xor_b32_e32 v4, v4, v7
	v_sub_co_u32 v4, vcc_lo, v4, v7
	v_sub_co_ci_u32_e64 v5, null, v5, v7, vcc_lo
	global_store_dwordx2 v[1:2], v[4:5], off
.LBB18_931:
	s_andn2_b32 vcc_lo, exec_lo, s8
	s_cbranch_vccnz .LBB18_933
; %bb.932:
	v_cvt_i32_f32_e32 v4, v31
	global_store_dword v[1:2], v4, off
.LBB18_933:
	s_mov_b32 s8, 0
.LBB18_934:
	s_andn2_b32 vcc_lo, exec_lo, s8
	s_cbranch_vccnz .LBB18_936
; %bb.935:
	v_cvt_i32_f32_e32 v4, v31
	global_store_short v[1:2], v4, off
.LBB18_936:
	s_mov_b32 s8, 0
.LBB18_937:
	s_andn2_b32 vcc_lo, exec_lo, s8
	s_cbranch_vccnz .LBB18_942
; %bb.938:
	s_cmp_gt_i32 s4, 0
	s_mov_b32 s4, -1
	s_cbranch_scc0 .LBB18_940
; %bb.939:
	v_cvt_i32_f32_e32 v4, v31
	s_mov_b32 s4, 0
	global_store_byte v[1:2], v4, off
.LBB18_940:
	s_andn2_b32 vcc_lo, exec_lo, s4
	s_cbranch_vccnz .LBB18_942
; %bb.941:
	v_trunc_f32_e32 v4, v31
	v_mul_f32_e64 v5, 0x2f800000, |v4|
	v_floor_f32_e32 v5, v5
	v_fma_f32 v5, 0xcf800000, v5, |v4|
	v_ashrrev_i32_e32 v4, 31, v4
	v_cvt_u32_f32_e32 v5, v5
	v_xor_b32_e32 v5, v5, v4
	v_sub_nc_u32_e32 v4, v5, v4
	global_store_byte v[1:2], v4, off
.LBB18_942:
	s_branch .LBB18_828
.LBB18_943:
	s_mov_b32 s4, 0
	s_mov_b32 s8, 0
                                        ; implicit-def: $sgpr5
                                        ; implicit-def: $vgpr2_vgpr3
.LBB18_944:
	s_andn2_b32 s7, s25, exec_lo
	s_and_b32 s6, s6, exec_lo
	s_and_b32 s4, s4, exec_lo
	;; [unrolled: 1-line block ×3, first 2 shown]
	s_or_b32 s25, s7, s6
.LBB18_945:
	s_or_b32 exec_lo, exec_lo, s24
	s_and_saveexec_b32 s6, s25
	s_cbranch_execz .LBB18_948
; %bb.946:
	; divergent unreachable
	s_or_b32 exec_lo, exec_lo, s6
	s_and_saveexec_b32 s6, s23
	s_xor_b32 s6, exec_lo, s6
	s_cbranch_execnz .LBB18_949
.LBB18_947:
	s_or_b32 exec_lo, exec_lo, s6
	s_and_saveexec_b32 s6, s4
	s_cbranch_execnz .LBB18_950
	s_branch .LBB18_987
.LBB18_948:
	s_or_b32 exec_lo, exec_lo, s6
	s_and_saveexec_b32 s6, s23
	s_xor_b32 s6, exec_lo, s6
	s_cbranch_execz .LBB18_947
.LBB18_949:
	v_cmp_neq_f32_e32 vcc_lo, 0, v0
	v_cndmask_b32_e64 v1, 0, 1, vcc_lo
	global_store_byte v[2:3], v1, off
	s_or_b32 exec_lo, exec_lo, s6
	s_and_saveexec_b32 s6, s4
	s_cbranch_execz .LBB18_987
.LBB18_950:
	s_sext_i32_i16 s6, s5
	s_mov_b32 s4, -1
	s_cmp_lt_i32 s6, 5
	s_cbranch_scc1 .LBB18_971
; %bb.951:
	s_cmp_lt_i32 s6, 8
	s_cbranch_scc1 .LBB18_961
; %bb.952:
	;; [unrolled: 3-line block ×3, first 2 shown]
	s_cmp_gt_i32 s6, 9
	s_cbranch_scc0 .LBB18_955
; %bb.954:
	v_cvt_f64_f32_e32 v[4:5], v0
	v_mov_b32_e32 v6, 0
	s_mov_b32 s4, 0
	v_mov_b32_e32 v7, v6
	global_store_dwordx4 v[2:3], v[4:7], off
.LBB18_955:
	s_andn2_b32 vcc_lo, exec_lo, s4
	s_cbranch_vccnz .LBB18_957
; %bb.956:
	v_mov_b32_e32 v1, 0
	global_store_dwordx2 v[2:3], v[0:1], off
.LBB18_957:
	s_mov_b32 s4, 0
.LBB18_958:
	s_andn2_b32 vcc_lo, exec_lo, s4
	s_cbranch_vccnz .LBB18_960
; %bb.959:
	v_cvt_f16_f32_e32 v1, v0
	v_and_b32_e32 v1, 0xffff, v1
	global_store_dword v[2:3], v1, off
.LBB18_960:
	s_mov_b32 s4, 0
.LBB18_961:
	s_andn2_b32 vcc_lo, exec_lo, s4
	s_cbranch_vccnz .LBB18_970
; %bb.962:
	s_sext_i32_i16 s6, s5
	s_mov_b32 s4, -1
	s_cmp_lt_i32 s6, 6
	s_cbranch_scc1 .LBB18_968
; %bb.963:
	s_cmp_gt_i32 s6, 6
	s_cbranch_scc0 .LBB18_965
; %bb.964:
	v_cvt_f64_f32_e32 v[4:5], v0
	s_mov_b32 s4, 0
	global_store_dwordx2 v[2:3], v[4:5], off
.LBB18_965:
	s_andn2_b32 vcc_lo, exec_lo, s4
	s_cbranch_vccnz .LBB18_967
; %bb.966:
	global_store_dword v[2:3], v0, off
.LBB18_967:
	s_mov_b32 s4, 0
.LBB18_968:
	s_andn2_b32 vcc_lo, exec_lo, s4
	s_cbranch_vccnz .LBB18_970
; %bb.969:
	v_cvt_f16_f32_e32 v1, v0
	global_store_short v[2:3], v1, off
.LBB18_970:
	s_mov_b32 s4, 0
.LBB18_971:
	s_andn2_b32 vcc_lo, exec_lo, s4
	s_cbranch_vccnz .LBB18_987
; %bb.972:
	s_sext_i32_i16 s6, s5
	s_mov_b32 s4, -1
	s_cmp_lt_i32 s6, 2
	s_cbranch_scc1 .LBB18_982
; %bb.973:
	s_cmp_lt_i32 s6, 3
	s_cbranch_scc1 .LBB18_979
; %bb.974:
	s_cmp_gt_i32 s6, 3
	s_cbranch_scc0 .LBB18_976
; %bb.975:
	v_trunc_f32_e32 v1, v0
	s_mov_b32 s4, 0
	v_mul_f32_e64 v4, 0x2f800000, |v1|
	v_floor_f32_e32 v4, v4
	v_fma_f32 v5, 0xcf800000, v4, |v1|
	v_ashrrev_i32_e32 v1, 31, v1
	v_cvt_u32_f32_e32 v4, v4
	v_cvt_u32_f32_e32 v5, v5
	v_xor_b32_e32 v6, v4, v1
	v_xor_b32_e32 v5, v5, v1
	v_sub_co_u32 v4, vcc_lo, v5, v1
	v_sub_co_ci_u32_e64 v5, null, v6, v1, vcc_lo
	global_store_dwordx2 v[2:3], v[4:5], off
.LBB18_976:
	s_andn2_b32 vcc_lo, exec_lo, s4
	s_cbranch_vccnz .LBB18_978
; %bb.977:
	v_cvt_i32_f32_e32 v1, v0
	global_store_dword v[2:3], v1, off
.LBB18_978:
	s_mov_b32 s4, 0
.LBB18_979:
	s_andn2_b32 vcc_lo, exec_lo, s4
	s_cbranch_vccnz .LBB18_981
; %bb.980:
	v_cvt_i32_f32_e32 v1, v0
	global_store_short v[2:3], v1, off
.LBB18_981:
	s_mov_b32 s4, 0
.LBB18_982:
	s_andn2_b32 vcc_lo, exec_lo, s4
	s_cbranch_vccnz .LBB18_987
; %bb.983:
	s_sext_i32_i16 s4, s5
	s_cmp_gt_i32 s4, 0
	s_mov_b32 s4, -1
	s_cbranch_scc0 .LBB18_985
; %bb.984:
	v_cvt_i32_f32_e32 v1, v0
	s_mov_b32 s4, 0
	global_store_byte v[2:3], v1, off
.LBB18_985:
	s_andn2_b32 vcc_lo, exec_lo, s4
	s_cbranch_vccnz .LBB18_987
; %bb.986:
	v_trunc_f32_e32 v0, v0
	v_mul_f32_e64 v1, 0x2f800000, |v0|
	v_floor_f32_e32 v1, v1
	v_fma_f32 v1, 0xcf800000, v1, |v0|
	v_ashrrev_i32_e32 v0, 31, v0
	v_cvt_u32_f32_e32 v1, v1
	v_xor_b32_e32 v1, v1, v0
	v_sub_nc_u32_e32 v0, v1, v0
	global_store_byte v[2:3], v0, off
	s_endpgm
.LBB18_987:
	s_endpgm
.LBB18_988:
	s_mov_b32 s8, 0
	s_mov_b32 s4, -1
	s_branch .LBB18_944
.LBB18_989:
	s_andn2_saveexec_b32 s10, s10
	s_cbranch_execz .LBB18_541
.LBB18_990:
	v_add_f32_e64 v4, 0x46000000, |v33|
	s_andn2_b32 s9, s9, exec_lo
	v_and_b32_e32 v4, 0xff, v4
	v_cmp_ne_u32_e32 vcc_lo, 0, v4
	s_and_b32 s11, vcc_lo, exec_lo
	s_or_b32 s9, s9, s11
	s_or_b32 exec_lo, exec_lo, s10
	v_mov_b32_e32 v5, 0
	s_and_saveexec_b32 s10, s9
	s_cbranch_execnz .LBB18_542
	s_branch .LBB18_543
.LBB18_991:
	s_or_b32 s6, s25, exec_lo
	s_trap 2
	s_cbranch_execz .LBB18_589
	s_branch .LBB18_590
.LBB18_992:
	s_andn2_saveexec_b32 s9, s9
	s_cbranch_execz .LBB18_554
.LBB18_993:
	v_add_f32_e64 v4, 0x42800000, |v33|
	s_andn2_b32 s8, s8, exec_lo
	v_and_b32_e32 v4, 0xff, v4
	v_cmp_ne_u32_e32 vcc_lo, 0, v4
	s_and_b32 s10, vcc_lo, exec_lo
	s_or_b32 s8, s8, s10
	s_or_b32 exec_lo, exec_lo, s9
	v_mov_b32_e32 v5, 0
	s_and_saveexec_b32 s9, s8
	s_cbranch_execnz .LBB18_555
	s_branch .LBB18_556
.LBB18_994:
	s_andn2_saveexec_b32 s12, s12
	s_cbranch_execz .LBB18_659
.LBB18_995:
	v_add_f32_e64 v4, 0x46000000, |v32|
	s_andn2_b32 s11, s11, exec_lo
	v_and_b32_e32 v4, 0xff, v4
	v_cmp_ne_u32_e32 vcc_lo, 0, v4
	s_and_b32 s13, vcc_lo, exec_lo
	s_or_b32 s11, s11, s13
	s_or_b32 exec_lo, exec_lo, s12
	v_mov_b32_e32 v5, 0
	s_and_saveexec_b32 s12, s11
	s_cbranch_execnz .LBB18_660
	s_branch .LBB18_661
.LBB18_996:
	s_or_b32 s6, s6, exec_lo
	s_trap 2
	s_cbranch_execz .LBB18_707
	s_branch .LBB18_708
.LBB18_997:
	s_andn2_saveexec_b32 s11, s11
	s_cbranch_execz .LBB18_672
.LBB18_998:
	v_add_f32_e64 v4, 0x42800000, |v32|
	s_andn2_b32 s10, s10, exec_lo
	v_and_b32_e32 v4, 0xff, v4
	v_cmp_ne_u32_e32 vcc_lo, 0, v4
	s_and_b32 s12, vcc_lo, exec_lo
	s_or_b32 s10, s10, s12
	s_or_b32 exec_lo, exec_lo, s11
	v_mov_b32_e32 v5, 0
	s_and_saveexec_b32 s11, s10
	s_cbranch_execnz .LBB18_673
	s_branch .LBB18_674
.LBB18_999:
	s_andn2_saveexec_b32 s12, s12
	s_cbranch_execz .LBB18_777
.LBB18_1000:
	v_add_f32_e64 v4, 0x46000000, |v31|
	s_andn2_b32 s11, s11, exec_lo
	v_and_b32_e32 v4, 0xff, v4
	v_cmp_ne_u32_e32 vcc_lo, 0, v4
	s_and_b32 s13, vcc_lo, exec_lo
	s_or_b32 s11, s11, s13
	s_or_b32 exec_lo, exec_lo, s12
	v_mov_b32_e32 v5, 0
	s_and_saveexec_b32 s12, s11
	s_cbranch_execnz .LBB18_778
	s_branch .LBB18_779
.LBB18_1001:
	s_or_b32 s6, s6, exec_lo
	s_trap 2
	s_cbranch_execz .LBB18_825
	s_branch .LBB18_826
.LBB18_1002:
	s_andn2_saveexec_b32 s11, s11
	s_cbranch_execz .LBB18_790
.LBB18_1003:
	v_add_f32_e64 v4, 0x42800000, |v31|
	s_andn2_b32 s10, s10, exec_lo
	v_and_b32_e32 v4, 0xff, v4
	v_cmp_ne_u32_e32 vcc_lo, 0, v4
	s_and_b32 s12, vcc_lo, exec_lo
	s_or_b32 s10, s10, s12
	s_or_b32 exec_lo, exec_lo, s11
	v_mov_b32_e32 v5, 0
	s_and_saveexec_b32 s11, s10
	s_cbranch_execnz .LBB18_791
	s_branch .LBB18_792
.LBB18_1004:
	s_andn2_saveexec_b32 s11, s11
	s_cbranch_execz .LBB18_857
.LBB18_1005:
	v_add_f32_e64 v1, 0x46000000, |v0|
	s_andn2_b32 s10, s10, exec_lo
	v_and_b32_e32 v1, 0xff, v1
	v_cmp_ne_u32_e32 vcc_lo, 0, v1
	s_and_b32 s12, vcc_lo, exec_lo
	s_or_b32 s10, s10, s12
	s_or_b32 exec_lo, exec_lo, s11
	v_mov_b32_e32 v4, 0
	s_and_saveexec_b32 s11, s10
	s_cbranch_execnz .LBB18_858
	s_branch .LBB18_859
.LBB18_1006:
	s_mov_b32 s8, 0
	s_or_b32 s6, s6, exec_lo
	s_trap 2
	s_branch .LBB18_903
.LBB18_1007:
	s_andn2_saveexec_b32 s9, s9
	s_cbranch_execz .LBB18_422
.LBB18_1008:
	v_add_f32_e64 v1, 0x46000000, |v0|
	s_andn2_b32 s8, s8, exec_lo
	v_and_b32_e32 v1, 0xff, v1
	v_cmp_ne_u32_e32 vcc_lo, 0, v1
	s_and_b32 s10, vcc_lo, exec_lo
	s_or_b32 s8, s8, s10
	s_or_b32 exec_lo, exec_lo, s9
	v_mov_b32_e32 v4, 0
	s_and_saveexec_b32 s9, s8
	s_cbranch_execnz .LBB18_423
	s_branch .LBB18_424
.LBB18_1009:
	s_andn2_saveexec_b32 s10, s10
	s_cbranch_execz .LBB18_869
.LBB18_1010:
	v_add_f32_e64 v1, 0x42800000, |v0|
	s_andn2_b32 s9, s9, exec_lo
	v_and_b32_e32 v1, 0xff, v1
	v_cmp_ne_u32_e32 vcc_lo, 0, v1
	s_and_b32 s11, vcc_lo, exec_lo
	s_or_b32 s9, s9, s11
	s_or_b32 exec_lo, exec_lo, s10
	v_mov_b32_e32 v4, 0
	s_and_saveexec_b32 s10, s9
	s_cbranch_execnz .LBB18_870
	s_branch .LBB18_871
.LBB18_1011:
	s_andn2_saveexec_b32 s10, s10
	s_cbranch_execz .LBB18_434
.LBB18_1012:
	v_add_f32_e64 v1, 0x42800000, |v0|
	s_andn2_b32 s9, s9, exec_lo
	v_and_b32_e32 v1, 0xff, v1
	v_cmp_ne_u32_e32 vcc_lo, 0, v1
	s_and_b32 s11, vcc_lo, exec_lo
	s_or_b32 s9, s9, s11
	s_or_b32 exec_lo, exec_lo, s10
	v_mov_b32_e32 v4, 0
	s_and_saveexec_b32 s10, s9
	s_cbranch_execnz .LBB18_435
	s_branch .LBB18_436
	.section	.rodata,"a",@progbits
	.p2align	6, 0x0
	.amdhsa_kernel _ZN2at6native32elementwise_kernel_manual_unrollILi128ELi4EZNS0_15gpu_kernel_implIZZZNS0_12_GLOBAL__N_121bessel_j1_kernel_cudaERNS_18TensorIteratorBaseEENKUlvE_clEvENKUlvE0_clEvEUlfE_EEvS5_RKT_EUlibE_EEviT1_
		.amdhsa_group_segment_fixed_size 0
		.amdhsa_private_segment_fixed_size 0
		.amdhsa_kernarg_size 40
		.amdhsa_user_sgpr_count 6
		.amdhsa_user_sgpr_private_segment_buffer 1
		.amdhsa_user_sgpr_dispatch_ptr 0
		.amdhsa_user_sgpr_queue_ptr 0
		.amdhsa_user_sgpr_kernarg_segment_ptr 1
		.amdhsa_user_sgpr_dispatch_id 0
		.amdhsa_user_sgpr_flat_scratch_init 0
		.amdhsa_user_sgpr_private_segment_size 0
		.amdhsa_wavefront_size32 1
		.amdhsa_uses_dynamic_stack 0
		.amdhsa_system_sgpr_private_segment_wavefront_offset 0
		.amdhsa_system_sgpr_workgroup_id_x 1
		.amdhsa_system_sgpr_workgroup_id_y 0
		.amdhsa_system_sgpr_workgroup_id_z 0
		.amdhsa_system_sgpr_workgroup_info 0
		.amdhsa_system_vgpr_workitem_id 0
		.amdhsa_next_free_vgpr 38
		.amdhsa_next_free_sgpr 35
		.amdhsa_reserve_vcc 1
		.amdhsa_reserve_flat_scratch 0
		.amdhsa_float_round_mode_32 0
		.amdhsa_float_round_mode_16_64 0
		.amdhsa_float_denorm_mode_32 3
		.amdhsa_float_denorm_mode_16_64 3
		.amdhsa_dx10_clamp 1
		.amdhsa_ieee_mode 1
		.amdhsa_fp16_overflow 0
		.amdhsa_workgroup_processor_mode 1
		.amdhsa_memory_ordered 1
		.amdhsa_forward_progress 1
		.amdhsa_shared_vgpr_count 0
		.amdhsa_exception_fp_ieee_invalid_op 0
		.amdhsa_exception_fp_denorm_src 0
		.amdhsa_exception_fp_ieee_div_zero 0
		.amdhsa_exception_fp_ieee_overflow 0
		.amdhsa_exception_fp_ieee_underflow 0
		.amdhsa_exception_fp_ieee_inexact 0
		.amdhsa_exception_int_div_zero 0
	.end_amdhsa_kernel
	.section	.text._ZN2at6native32elementwise_kernel_manual_unrollILi128ELi4EZNS0_15gpu_kernel_implIZZZNS0_12_GLOBAL__N_121bessel_j1_kernel_cudaERNS_18TensorIteratorBaseEENKUlvE_clEvENKUlvE0_clEvEUlfE_EEvS5_RKT_EUlibE_EEviT1_,"axG",@progbits,_ZN2at6native32elementwise_kernel_manual_unrollILi128ELi4EZNS0_15gpu_kernel_implIZZZNS0_12_GLOBAL__N_121bessel_j1_kernel_cudaERNS_18TensorIteratorBaseEENKUlvE_clEvENKUlvE0_clEvEUlfE_EEvS5_RKT_EUlibE_EEviT1_,comdat
.Lfunc_end18:
	.size	_ZN2at6native32elementwise_kernel_manual_unrollILi128ELi4EZNS0_15gpu_kernel_implIZZZNS0_12_GLOBAL__N_121bessel_j1_kernel_cudaERNS_18TensorIteratorBaseEENKUlvE_clEvENKUlvE0_clEvEUlfE_EEvS5_RKT_EUlibE_EEviT1_, .Lfunc_end18-_ZN2at6native32elementwise_kernel_manual_unrollILi128ELi4EZNS0_15gpu_kernel_implIZZZNS0_12_GLOBAL__N_121bessel_j1_kernel_cudaERNS_18TensorIteratorBaseEENKUlvE_clEvENKUlvE0_clEvEUlfE_EEvS5_RKT_EUlibE_EEviT1_
                                        ; -- End function
	.set _ZN2at6native32elementwise_kernel_manual_unrollILi128ELi4EZNS0_15gpu_kernel_implIZZZNS0_12_GLOBAL__N_121bessel_j1_kernel_cudaERNS_18TensorIteratorBaseEENKUlvE_clEvENKUlvE0_clEvEUlfE_EEvS5_RKT_EUlibE_EEviT1_.num_vgpr, max(38, .L_ZN2at6native6invokeIZZZNS0_12_GLOBAL__N_121bessel_j1_kernel_cudaERNS_18TensorIteratorBaseEENKUlvE_clEvENKUlvE0_clEvEUlfE_i15function_traitsIS7_EEENT1_11result_typeERKT_PrKPcPKT0_PKN3c1010ScalarTypeEi.num_vgpr)
	.set _ZN2at6native32elementwise_kernel_manual_unrollILi128ELi4EZNS0_15gpu_kernel_implIZZZNS0_12_GLOBAL__N_121bessel_j1_kernel_cudaERNS_18TensorIteratorBaseEENKUlvE_clEvENKUlvE0_clEvEUlfE_EEvS5_RKT_EUlibE_EEviT1_.num_agpr, max(0, .L_ZN2at6native6invokeIZZZNS0_12_GLOBAL__N_121bessel_j1_kernel_cudaERNS_18TensorIteratorBaseEENKUlvE_clEvENKUlvE0_clEvEUlfE_i15function_traitsIS7_EEENT1_11result_typeERKT_PrKPcPKT0_PKN3c1010ScalarTypeEi.num_agpr)
	.set _ZN2at6native32elementwise_kernel_manual_unrollILi128ELi4EZNS0_15gpu_kernel_implIZZZNS0_12_GLOBAL__N_121bessel_j1_kernel_cudaERNS_18TensorIteratorBaseEENKUlvE_clEvENKUlvE0_clEvEUlfE_EEvS5_RKT_EUlibE_EEviT1_.numbered_sgpr, max(35, .L_ZN2at6native6invokeIZZZNS0_12_GLOBAL__N_121bessel_j1_kernel_cudaERNS_18TensorIteratorBaseEENKUlvE_clEvENKUlvE0_clEvEUlfE_i15function_traitsIS7_EEENT1_11result_typeERKT_PrKPcPKT0_PKN3c1010ScalarTypeEi.numbered_sgpr)
	.set _ZN2at6native32elementwise_kernel_manual_unrollILi128ELi4EZNS0_15gpu_kernel_implIZZZNS0_12_GLOBAL__N_121bessel_j1_kernel_cudaERNS_18TensorIteratorBaseEENKUlvE_clEvENKUlvE0_clEvEUlfE_EEvS5_RKT_EUlibE_EEviT1_.num_named_barrier, max(0, .L_ZN2at6native6invokeIZZZNS0_12_GLOBAL__N_121bessel_j1_kernel_cudaERNS_18TensorIteratorBaseEENKUlvE_clEvENKUlvE0_clEvEUlfE_i15function_traitsIS7_EEENT1_11result_typeERKT_PrKPcPKT0_PKN3c1010ScalarTypeEi.num_named_barrier)
	.set _ZN2at6native32elementwise_kernel_manual_unrollILi128ELi4EZNS0_15gpu_kernel_implIZZZNS0_12_GLOBAL__N_121bessel_j1_kernel_cudaERNS_18TensorIteratorBaseEENKUlvE_clEvENKUlvE0_clEvEUlfE_EEvS5_RKT_EUlibE_EEviT1_.private_seg_size, 0+max(.L_ZN2at6native6invokeIZZZNS0_12_GLOBAL__N_121bessel_j1_kernel_cudaERNS_18TensorIteratorBaseEENKUlvE_clEvENKUlvE0_clEvEUlfE_i15function_traitsIS7_EEENT1_11result_typeERKT_PrKPcPKT0_PKN3c1010ScalarTypeEi.private_seg_size)
	.set _ZN2at6native32elementwise_kernel_manual_unrollILi128ELi4EZNS0_15gpu_kernel_implIZZZNS0_12_GLOBAL__N_121bessel_j1_kernel_cudaERNS_18TensorIteratorBaseEENKUlvE_clEvENKUlvE0_clEvEUlfE_EEvS5_RKT_EUlibE_EEviT1_.uses_vcc, or(1, .L_ZN2at6native6invokeIZZZNS0_12_GLOBAL__N_121bessel_j1_kernel_cudaERNS_18TensorIteratorBaseEENKUlvE_clEvENKUlvE0_clEvEUlfE_i15function_traitsIS7_EEENT1_11result_typeERKT_PrKPcPKT0_PKN3c1010ScalarTypeEi.uses_vcc)
	.set _ZN2at6native32elementwise_kernel_manual_unrollILi128ELi4EZNS0_15gpu_kernel_implIZZZNS0_12_GLOBAL__N_121bessel_j1_kernel_cudaERNS_18TensorIteratorBaseEENKUlvE_clEvENKUlvE0_clEvEUlfE_EEvS5_RKT_EUlibE_EEviT1_.uses_flat_scratch, or(0, .L_ZN2at6native6invokeIZZZNS0_12_GLOBAL__N_121bessel_j1_kernel_cudaERNS_18TensorIteratorBaseEENKUlvE_clEvENKUlvE0_clEvEUlfE_i15function_traitsIS7_EEENT1_11result_typeERKT_PrKPcPKT0_PKN3c1010ScalarTypeEi.uses_flat_scratch)
	.set _ZN2at6native32elementwise_kernel_manual_unrollILi128ELi4EZNS0_15gpu_kernel_implIZZZNS0_12_GLOBAL__N_121bessel_j1_kernel_cudaERNS_18TensorIteratorBaseEENKUlvE_clEvENKUlvE0_clEvEUlfE_EEvS5_RKT_EUlibE_EEviT1_.has_dyn_sized_stack, or(0, .L_ZN2at6native6invokeIZZZNS0_12_GLOBAL__N_121bessel_j1_kernel_cudaERNS_18TensorIteratorBaseEENKUlvE_clEvENKUlvE0_clEvEUlfE_i15function_traitsIS7_EEENT1_11result_typeERKT_PrKPcPKT0_PKN3c1010ScalarTypeEi.has_dyn_sized_stack)
	.set _ZN2at6native32elementwise_kernel_manual_unrollILi128ELi4EZNS0_15gpu_kernel_implIZZZNS0_12_GLOBAL__N_121bessel_j1_kernel_cudaERNS_18TensorIteratorBaseEENKUlvE_clEvENKUlvE0_clEvEUlfE_EEvS5_RKT_EUlibE_EEviT1_.has_recursion, or(0, .L_ZN2at6native6invokeIZZZNS0_12_GLOBAL__N_121bessel_j1_kernel_cudaERNS_18TensorIteratorBaseEENKUlvE_clEvENKUlvE0_clEvEUlfE_i15function_traitsIS7_EEENT1_11result_typeERKT_PrKPcPKT0_PKN3c1010ScalarTypeEi.has_recursion)
	.set _ZN2at6native32elementwise_kernel_manual_unrollILi128ELi4EZNS0_15gpu_kernel_implIZZZNS0_12_GLOBAL__N_121bessel_j1_kernel_cudaERNS_18TensorIteratorBaseEENKUlvE_clEvENKUlvE0_clEvEUlfE_EEvS5_RKT_EUlibE_EEviT1_.has_indirect_call, or(0, .L_ZN2at6native6invokeIZZZNS0_12_GLOBAL__N_121bessel_j1_kernel_cudaERNS_18TensorIteratorBaseEENKUlvE_clEvENKUlvE0_clEvEUlfE_i15function_traitsIS7_EEENT1_11result_typeERKT_PrKPcPKT0_PKN3c1010ScalarTypeEi.has_indirect_call)
	.section	.AMDGPU.csdata,"",@progbits
; Kernel info:
; codeLenInByte = 16296
; TotalNumSgprs: 37
; NumVgprs: 38
; ScratchSize: 0
; MemoryBound: 0
; FloatMode: 240
; IeeeMode: 1
; LDSByteSize: 0 bytes/workgroup (compile time only)
; SGPRBlocks: 0
; VGPRBlocks: 4
; NumSGPRsForWavesPerEU: 37
; NumVGPRsForWavesPerEU: 38
; Occupancy: 16
; WaveLimiterHint : 0
; COMPUTE_PGM_RSRC2:SCRATCH_EN: 0
; COMPUTE_PGM_RSRC2:USER_SGPR: 6
; COMPUTE_PGM_RSRC2:TRAP_HANDLER: 0
; COMPUTE_PGM_RSRC2:TGID_X_EN: 1
; COMPUTE_PGM_RSRC2:TGID_Y_EN: 0
; COMPUTE_PGM_RSRC2:TGID_Z_EN: 0
; COMPUTE_PGM_RSRC2:TIDIG_COMP_CNT: 0
	.text
	.p2align	2                               ; -- Begin function _ZN2at6native6invokeIZZZNS0_12_GLOBAL__N_121bessel_j1_kernel_cudaERNS_18TensorIteratorBaseEENKUlvE_clEvENKUlvE0_clEvEUlfE_j15function_traitsIS7_EEENT1_11result_typeERKT_PrKPcPKT0_PKN3c1010ScalarTypeEi
	.type	_ZN2at6native6invokeIZZZNS0_12_GLOBAL__N_121bessel_j1_kernel_cudaERNS_18TensorIteratorBaseEENKUlvE_clEvENKUlvE0_clEvEUlfE_j15function_traitsIS7_EEENT1_11result_typeERKT_PrKPcPKT0_PKN3c1010ScalarTypeEi,@function
_ZN2at6native6invokeIZZZNS0_12_GLOBAL__N_121bessel_j1_kernel_cudaERNS_18TensorIteratorBaseEENKUlvE_clEvENKUlvE0_clEvEUlfE_j15function_traitsIS7_EEENT1_11result_typeERKT_PrKPcPKT0_PKN3c1010ScalarTypeEi: ; @_ZN2at6native6invokeIZZZNS0_12_GLOBAL__N_121bessel_j1_kernel_cudaERNS_18TensorIteratorBaseEENKUlvE_clEvENKUlvE0_clEvEUlfE_j15function_traitsIS7_EEENT1_11result_typeERKT_PrKPcPKT0_PKN3c1010ScalarTypeEi
; %bb.0:
	s_waitcnt vmcnt(0) expcnt(0) lgkmcnt(0)
	v_mov_b32_e32 v4, 10
	v_add_co_u32 v0, vcc_lo, v0, v2
	v_add_co_ci_u32_e64 v1, null, 0, v1, vcc_lo
	v_cmp_gt_i16_sdwa s4, v3, v4 src0_sel:BYTE_0 src1_sel:DWORD
	s_mov_b32 s5, 0
                                        ; implicit-def: $vgpr2
	s_and_saveexec_b32 s6, s4
	s_xor_b32 s4, exec_lo, s6
	s_cbranch_execz .LBB19_46
; %bb.1:
	v_mov_b32_e32 v2, 25
	s_mov_b32 s8, 0
	s_mov_b32 s7, 0
	v_cmp_gt_i16_sdwa s6, v3, v2 src0_sel:BYTE_0 src1_sel:DWORD
                                        ; implicit-def: $vgpr2
	s_and_saveexec_b32 s9, s6
	s_xor_b32 s6, exec_lo, s9
	s_cbranch_execz .LBB19_89
; %bb.2:
	v_mov_b32_e32 v2, 28
	s_mov_b32 s9, 0
	v_cmp_gt_i16_sdwa s7, v3, v2 src0_sel:BYTE_0 src1_sel:DWORD
                                        ; implicit-def: $vgpr2
	s_and_saveexec_b32 s10, s7
	s_xor_b32 s7, exec_lo, s10
	s_cbranch_execz .LBB19_18
; %bb.3:
	v_mov_b32_e32 v2, 43
	s_mov_b32 s10, 0
	s_mov_b32 s11, 0
	v_cmp_gt_i16_sdwa s8, v3, v2 src0_sel:BYTE_0 src1_sel:DWORD
                                        ; implicit-def: $vgpr2
	s_and_saveexec_b32 s9, s8
	s_xor_b32 s8, exec_lo, s9
	s_cbranch_execz .LBB19_13
; %bb.4:
	v_mov_b32_e32 v2, 45
	s_mov_b32 s9, 0
	v_cmp_gt_i16_sdwa s11, v3, v2 src0_sel:BYTE_0 src1_sel:DWORD
                                        ; implicit-def: $vgpr2
	s_and_saveexec_b32 s12, s11
	s_xor_b32 s11, exec_lo, s12
	s_cbranch_execz .LBB19_8
; %bb.5:
	v_mov_b32_e32 v2, 46
	s_mov_b32 s12, -1
	v_cmp_eq_u16_sdwa s13, v3, v2 src0_sel:BYTE_0 src1_sel:DWORD
                                        ; implicit-def: $vgpr2
	s_and_saveexec_b32 s10, s13
	s_cbranch_execz .LBB19_7
; %bb.6:
	flat_load_dword v2, v[0:1]
	s_mov_b32 s9, exec_lo
	s_xor_b32 s12, exec_lo, -1
	s_waitcnt vmcnt(0) lgkmcnt(0)
	v_lshlrev_b32_e32 v2, 16, v2
.LBB19_7:
	s_or_b32 exec_lo, exec_lo, s10
	s_and_b32 s10, s9, exec_lo
	s_and_b32 s9, s12, exec_lo
                                        ; implicit-def: $vgpr3
.LBB19_8:
	s_andn2_saveexec_b32 s11, s11
	s_cbranch_execz .LBB19_12
; %bb.9:
	v_mov_b32_e32 v2, 44
	s_mov_b32 s12, -1
	s_mov_b32 s14, s10
	v_cmp_eq_u16_sdwa s15, v3, v2 src0_sel:BYTE_0 src1_sel:DWORD
                                        ; implicit-def: $vgpr2
	s_and_saveexec_b32 s13, s15
	s_cbranch_execz .LBB19_11
; %bb.10:
	flat_load_ubyte v2, v[0:1]
	s_or_b32 s14, s10, exec_lo
	s_xor_b32 s12, exec_lo, -1
	s_waitcnt vmcnt(0) lgkmcnt(0)
	v_lshlrev_b32_e32 v3, 23, v2
	v_cmp_ne_u32_e32 vcc_lo, 0xff, v2
	v_cndmask_b32_e32 v3, 0x7f800001, v3, vcc_lo
	v_cmp_ne_u32_e32 vcc_lo, 0, v2
	v_cndmask_b32_e32 v2, 0x400000, v3, vcc_lo
.LBB19_11:
	s_or_b32 exec_lo, exec_lo, s13
	s_andn2_b32 s10, s10, exec_lo
	s_and_b32 s13, s14, exec_lo
	s_andn2_b32 s9, s9, exec_lo
	s_and_b32 s12, s12, exec_lo
	s_or_b32 s10, s10, s13
	s_or_b32 s9, s9, s12
.LBB19_12:
	s_or_b32 exec_lo, exec_lo, s11
	s_and_b32 s11, s10, exec_lo
	s_and_b32 s10, s9, exec_lo
                                        ; implicit-def: $vgpr3
.LBB19_13:
	s_andn2_saveexec_b32 s8, s8
	s_cbranch_execz .LBB19_17
; %bb.14:
	v_mov_b32_e32 v2, 29
	s_mov_b32 s9, -1
	s_mov_b32 s13, s11
	v_cmp_eq_u16_sdwa s14, v3, v2 src0_sel:BYTE_0 src1_sel:DWORD
                                        ; implicit-def: $vgpr2
	s_and_saveexec_b32 s12, s14
	s_cbranch_execz .LBB19_16
; %bb.15:
	flat_load_dwordx2 v[2:3], v[0:1]
	s_or_b32 s13, s11, exec_lo
	s_xor_b32 s9, exec_lo, -1
	s_waitcnt vmcnt(0) lgkmcnt(0)
	v_ffbh_u32_e32 v4, v3
	v_min_u32_e32 v4, 32, v4
	v_lshlrev_b64 v[2:3], v4, v[2:3]
	v_min_u32_e32 v2, 1, v2
	v_or_b32_e32 v2, v3, v2
	v_sub_nc_u32_e32 v3, 32, v4
	v_cvt_f32_u32_e32 v2, v2
	v_ldexp_f32 v2, v2, v3
.LBB19_16:
	s_or_b32 exec_lo, exec_lo, s12
	s_andn2_b32 s11, s11, exec_lo
	s_and_b32 s12, s13, exec_lo
	s_andn2_b32 s10, s10, exec_lo
	s_and_b32 s9, s9, exec_lo
	s_or_b32 s11, s11, s12
	s_or_b32 s10, s10, s9
.LBB19_17:
	s_or_b32 exec_lo, exec_lo, s8
	s_and_b32 s9, s11, exec_lo
	s_and_b32 s8, s10, exec_lo
                                        ; implicit-def: $vgpr3
.LBB19_18:
	s_andn2_saveexec_b32 s7, s7
	s_cbranch_execz .LBB19_34
; %bb.19:
	v_mov_b32_e32 v2, 26
	v_cmp_gt_i16_sdwa s10, v3, v2 src0_sel:BYTE_0 src1_sel:DWORD
                                        ; implicit-def: $vgpr2
	s_and_saveexec_b32 s11, s10
	s_xor_b32 s10, exec_lo, s11
	s_cbranch_execz .LBB19_25
; %bb.20:
	v_mov_b32_e32 v2, 27
	v_cmp_gt_i16_sdwa s11, v3, v2 src0_sel:BYTE_0 src1_sel:DWORD
                                        ; implicit-def: $vgpr2
	s_and_saveexec_b32 s12, s11
	s_xor_b32 s11, exec_lo, s12
	s_cbranch_execz .LBB19_22
; %bb.21:
	flat_load_dword v2, v[0:1]
	s_waitcnt vmcnt(0) lgkmcnt(0)
	v_cvt_f32_u32_e32 v2, v2
.LBB19_22:
	s_andn2_saveexec_b32 s11, s11
	s_cbranch_execz .LBB19_24
; %bb.23:
	flat_load_ushort v2, v[0:1]
	s_waitcnt vmcnt(0) lgkmcnt(0)
	v_cvt_f32_u32_e32 v2, v2
.LBB19_24:
	s_or_b32 exec_lo, exec_lo, s11
.LBB19_25:
	s_andn2_saveexec_b32 s10, s10
	s_cbranch_execz .LBB19_33
; %bb.26:
	flat_load_ubyte v3, v[0:1]
	s_mov_b32 s11, 0
	s_mov_b32 s12, exec_lo
	s_waitcnt vmcnt(0) lgkmcnt(0)
	v_cmpx_lt_i16_e32 0x7f, v3
	s_xor_b32 s12, exec_lo, s12
	s_cbranch_execz .LBB19_139
; %bb.27:
	s_mov_b32 s11, -1
	s_mov_b32 s13, exec_lo
	v_cmpx_eq_u16_e32 0x80, v3
; %bb.28:
	s_xor_b32 s11, exec_lo, -1
; %bb.29:
	s_or_b32 exec_lo, exec_lo, s13
	s_and_b32 s11, s11, exec_lo
	s_or_saveexec_b32 s12, s12
	v_mov_b32_e32 v2, 0x7f800001
	s_xor_b32 exec_lo, exec_lo, s12
	s_cbranch_execnz .LBB19_140
.LBB19_30:
	s_or_b32 exec_lo, exec_lo, s12
	s_and_saveexec_b32 s12, s11
	s_cbranch_execz .LBB19_32
.LBB19_31:
	v_and_b32_e32 v2, 0xffff, v3
	v_lshlrev_b32_e32 v3, 24, v3
	v_and_b32_e32 v4, 7, v2
	v_bfe_u32 v7, v2, 3, 4
	v_and_b32_e32 v3, 0x80000000, v3
	v_ffbh_u32_e32 v5, v4
	v_cmp_eq_u32_e32 vcc_lo, 0, v7
	v_min_u32_e32 v5, 32, v5
	v_subrev_nc_u32_e32 v6, 28, v5
	v_sub_nc_u32_e32 v5, 29, v5
	v_lshlrev_b32_e32 v2, v6, v2
	v_cndmask_b32_e32 v5, v7, v5, vcc_lo
	v_and_b32_e32 v2, 7, v2
	v_cndmask_b32_e32 v2, v4, v2, vcc_lo
	v_lshl_add_u32 v4, v5, 23, 0x3b800000
	v_lshlrev_b32_e32 v2, 20, v2
	v_or3_b32 v2, v3, v4, v2
.LBB19_32:
	s_or_b32 exec_lo, exec_lo, s12
.LBB19_33:
	s_or_b32 exec_lo, exec_lo, s10
	s_or_b32 s9, s9, exec_lo
.LBB19_34:
	s_or_b32 exec_lo, exec_lo, s7
	s_and_b32 s7, s9, exec_lo
	s_and_b32 s8, s8, exec_lo
                                        ; implicit-def: $vgpr3
	s_andn2_saveexec_b32 s6, s6
	s_cbranch_execnz .LBB19_90
.LBB19_35:
	s_or_b32 exec_lo, exec_lo, s6
	s_and_saveexec_b32 s6, s8
	s_cbranch_execnz .LBB19_115
.LBB19_36:
	s_or_b32 exec_lo, exec_lo, s6
	s_and_saveexec_b32 s6, s5
	s_xor_b32 s5, exec_lo, s6
	s_cbranch_execz .LBB19_38
.LBB19_37:
	flat_load_ubyte v0, v[0:1]
	s_or_b32 s7, s7, exec_lo
	s_waitcnt vmcnt(0) lgkmcnt(0)
	v_cmp_ne_u16_e32 vcc_lo, 0, v0
	v_cndmask_b32_e64 v2, 0, 1.0, vcc_lo
.LBB19_38:
	s_or_b32 exec_lo, exec_lo, s5
	s_and_b32 s5, s7, exec_lo
                                        ; implicit-def: $vgpr3
                                        ; implicit-def: $vgpr0_vgpr1
	s_andn2_saveexec_b32 s4, s4
	s_cbranch_execnz .LBB19_47
.LBB19_39:
	s_or_b32 exec_lo, exec_lo, s4
                                        ; implicit-def: $vgpr0
	s_and_saveexec_b32 s8, s5
	s_cbranch_execz .LBB19_88
.LBB19_40:
                                        ; implicit-def: $vgpr0
	s_mov_b32 s4, exec_lo
	s_waitcnt vmcnt(0) lgkmcnt(0)
	v_cmpx_ngt_f32_e32 0, v2
	s_xor_b32 s7, exec_lo, s4
	s_cbranch_execz .LBB19_124
; %bb.41:
	s_mov_b32 s4, exec_lo
                                        ; implicit-def: $vgpr0
	v_cmpx_ge_f32_e32 0x40a00000, v2
	s_xor_b32 s4, exec_lo, s4
	s_cbranch_execz .LBB19_43
; %bb.42:
	v_mul_f32_e32 v0, v2, v2
	v_fmaak_f32 v1, 0, v0, 0x441b3589
	v_fmaak_f32 v3, 0, v0, 0xce5691e2
	;; [unrolled: 1-line block ×12, first 2 shown]
	v_div_scale_f32 v1, null, v0, v0, v3
	v_div_scale_f32 v6, vcc_lo, v3, v0, v3
	v_rcp_f32_e32 v4, v1
	v_fma_f32 v5, -v1, v4, 1.0
	v_fmac_f32_e32 v4, v5, v4
	v_mul_f32_e32 v5, v6, v4
	v_fma_f32 v7, -v1, v5, v6
	v_fmac_f32_e32 v5, v7, v4
	v_fma_f32 v1, -v1, v5, v6
	v_div_fmas_f32 v1, v1, v4, v5
	v_div_fixup_f32 v0, v1, v0, v3
	v_fmaak_f32 v1, v2, v2, 0xc16ae95a
	v_mul_f32_e32 v0, v2, v0
	v_mul_f32_e32 v0, v1, v0
	v_fmaak_f32 v1, v2, v2, 0xc244dfb3
                                        ; implicit-def: $vgpr2
	v_mul_f32_e32 v0, v1, v0
.LBB19_43:
	s_andn2_saveexec_b32 s9, s4
	s_cbranch_execz .LBB19_123
; %bb.44:
	v_add_f32_e32 v0, 0xc016cbe4, v2
                                        ; implicit-def: $vgpr4
                                        ; implicit-def: $vgpr3
	v_and_b32_e32 v1, 0x7fffffff, v0
	v_cmp_ngt_f32_e64 s6, 0x48000000, |v0|
	v_lshrrev_b32_e32 v6, 23, v1
	s_and_saveexec_b32 s4, s6
	s_xor_b32 s10, exec_lo, s4
	s_cbranch_execz .LBB19_116
; %bb.45:
	s_mov_b32 s4, 0x7fffff
	v_mov_b32_e32 v5, 0
	v_and_or_b32 v13, v1, s4, 0x800000
	v_add_nc_u32_e32 v12, 0xffffff88, v6
	v_mad_u64_u32 v[3:4], null, 0xfe5163ab, v13, 0
	v_cmp_lt_u32_e32 vcc_lo, 63, v12
	v_cndmask_b32_e64 v14, 0, 0xffffffc0, vcc_lo
	v_mad_u64_u32 v[7:8], null, 0x3c439041, v13, v[4:5]
	v_add_nc_u32_e32 v14, v14, v12
	v_mov_b32_e32 v4, v8
	v_cmp_lt_u32_e64 s4, 31, v14
	v_mad_u64_u32 v[8:9], null, 0xdb629599, v13, v[4:5]
	v_cndmask_b32_e64 v15, 0, 0xffffffe0, s4
	v_mov_b32_e32 v4, v9
	v_cndmask_b32_e32 v3, v8, v3, vcc_lo
	v_mad_u64_u32 v[9:10], null, 0xf534ddc0, v13, v[4:5]
	v_mov_b32_e32 v4, v10
	v_cndmask_b32_e32 v7, v9, v7, vcc_lo
	v_mad_u64_u32 v[10:11], null, 0xfc2757d1, v13, v[4:5]
	v_cndmask_b32_e64 v3, v7, v3, s4
	v_mov_b32_e32 v4, v11
	v_mad_u64_u32 v[11:12], null, 0x4e441529, v13, v[4:5]
	v_mov_b32_e32 v4, v12
	v_add_nc_u32_e32 v12, v15, v14
	v_cndmask_b32_e32 v14, v11, v9, vcc_lo
	v_mad_u64_u32 v[4:5], null, 0xa2f9836e, v13, v[4:5]
	v_cmp_lt_u32_e64 s5, 31, v12
	v_cndmask_b32_e64 v13, 0, 0xffffffe0, s5
	v_cndmask_b32_e32 v4, v4, v10, vcc_lo
	v_cndmask_b32_e32 v5, v5, v11, vcc_lo
	;; [unrolled: 1-line block ×3, first 2 shown]
	v_add_nc_u32_e32 v11, v13, v12
	v_cndmask_b32_e64 v9, v4, v14, s4
	v_cndmask_b32_e64 v4, v5, v4, s4
	;; [unrolled: 1-line block ×4, first 2 shown]
	v_sub_nc_u32_e32 v12, 32, v11
	v_cmp_eq_u32_e32 vcc_lo, 0, v11
	v_cndmask_b32_e64 v4, v4, v9, s5
	v_cndmask_b32_e64 v9, v9, v5, s5
	;; [unrolled: 1-line block ×4, first 2 shown]
	v_alignbit_b32 v13, v4, v9, v12
	v_alignbit_b32 v8, v9, v5, v12
	;; [unrolled: 1-line block ×3, first 2 shown]
	v_cndmask_b32_e32 v4, v13, v4, vcc_lo
	v_cndmask_b32_e32 v7, v8, v9, vcc_lo
	;; [unrolled: 1-line block ×3, first 2 shown]
	v_bfe_u32 v8, v4, 29, 1
	v_alignbit_b32 v9, v4, v7, 30
	v_alignbit_b32 v7, v7, v5, 30
	;; [unrolled: 1-line block ×3, first 2 shown]
	v_sub_nc_u32_e32 v10, 0, v8
	v_xor_b32_e32 v9, v9, v10
	v_xor_b32_e32 v5, v7, v10
	;; [unrolled: 1-line block ×3, first 2 shown]
	v_lshrrev_b32_e32 v10, 29, v4
	v_lshrrev_b32_e32 v4, 30, v4
	v_ffbh_u32_e32 v11, v9
	v_add_nc_u32_e32 v4, v8, v4
	v_min_u32_e32 v11, 32, v11
	v_sub_nc_u32_e32 v7, 31, v11
	v_lshlrev_b32_e32 v12, 23, v11
	v_alignbit_b32 v9, v9, v5, v7
	v_alignbit_b32 v3, v5, v3, v7
	v_lshlrev_b32_e32 v5, 31, v10
	v_alignbit_b32 v7, v9, v3, 9
	v_or_b32_e32 v10, 0.5, v5
	v_lshrrev_b32_e32 v9, 9, v9
	v_or_b32_e32 v5, 0x33000000, v5
	v_ffbh_u32_e32 v13, v7
	v_sub_nc_u32_e32 v10, v10, v12
	v_min_u32_e32 v12, 32, v13
	v_or_b32_e32 v9, v9, v10
	v_not_b32_e32 v10, v12
	v_mul_f32_e32 v13, 0x3fc90fda, v9
	v_add_lshl_u32 v11, v12, v11, 23
	v_alignbit_b32 v3, v7, v3, v10
	v_fma_f32 v7, 0x3fc90fda, v9, -v13
	v_sub_nc_u32_e32 v5, v5, v11
	v_lshrrev_b32_e32 v3, 9, v3
	v_fmamk_f32 v7, v9, 0x33a22168, v7
	v_or_b32_e32 v3, v5, v3
	v_fmac_f32_e32 v7, 0x3fc90fda, v3
	v_add_f32_e32 v3, v13, v7
	s_or_saveexec_b32 s4, s10
	v_mul_f32_e64 v8, 0x3f22f983, |v0|
	s_xor_b32 exec_lo, exec_lo, s4
	s_branch .LBB19_117
.LBB19_46:
	s_andn2_saveexec_b32 s4, s4
	s_cbranch_execz .LBB19_39
.LBB19_47:
	v_mov_b32_e32 v2, 4
	v_cmp_gt_i16_sdwa s6, v3, v2 src0_sel:BYTE_0 src1_sel:DWORD
                                        ; implicit-def: $vgpr2
	s_and_saveexec_b32 s7, s6
	s_xor_b32 s6, exec_lo, s7
	s_cbranch_execz .LBB19_69
; %bb.48:
	v_mov_b32_e32 v2, 7
	v_cmp_gt_i16_sdwa s7, v3, v2 src0_sel:BYTE_0 src1_sel:DWORD
                                        ; implicit-def: $vgpr2
	s_and_saveexec_b32 s8, s7
	s_xor_b32 s7, exec_lo, s8
	s_cbranch_execz .LBB19_58
; %bb.49:
	;; [unrolled: 7-line block ×4, first 2 shown]
	flat_load_dwordx2 v[0:1], v[0:1]
	s_waitcnt vmcnt(0) lgkmcnt(0)
	v_cvt_f32_f64_e32 v2, v[0:1]
                                        ; implicit-def: $vgpr0_vgpr1
.LBB19_52:
	s_andn2_saveexec_b32 s9, s9
	s_cbranch_execz .LBB19_54
; %bb.53:
	flat_load_dword v2, v[0:1]
.LBB19_54:
	s_or_b32 exec_lo, exec_lo, s9
                                        ; implicit-def: $vgpr0_vgpr1
.LBB19_55:
	s_andn2_saveexec_b32 s8, s8
	s_cbranch_execz .LBB19_57
; %bb.56:
	flat_load_dword v0, v[0:1]
	s_waitcnt vmcnt(0) lgkmcnt(0)
	v_cvt_f32_f16_e32 v2, v0
.LBB19_57:
	s_or_b32 exec_lo, exec_lo, s8
                                        ; implicit-def: $vgpr0_vgpr1
                                        ; implicit-def: $vgpr3
.LBB19_58:
	s_andn2_saveexec_b32 s7, s7
	s_cbranch_execz .LBB19_68
; %bb.59:
	s_waitcnt vmcnt(0) lgkmcnt(0)
	v_mov_b32_e32 v2, 5
	v_cmp_gt_i16_sdwa s8, v3, v2 src0_sel:BYTE_0 src1_sel:DWORD
                                        ; implicit-def: $vgpr2
	s_and_saveexec_b32 s9, s8
	s_xor_b32 s8, exec_lo, s9
	s_cbranch_execz .LBB19_65
; %bb.60:
	v_mov_b32_e32 v2, 6
	v_cmp_gt_i16_sdwa s9, v3, v2 src0_sel:BYTE_0 src1_sel:DWORD
                                        ; implicit-def: $vgpr2
	s_and_saveexec_b32 s10, s9
	s_xor_b32 s9, exec_lo, s10
	s_cbranch_execz .LBB19_62
; %bb.61:
	flat_load_dwordx2 v[0:1], v[0:1]
	s_waitcnt vmcnt(0) lgkmcnt(0)
	v_cvt_f32_f64_e32 v2, v[0:1]
                                        ; implicit-def: $vgpr0_vgpr1
.LBB19_62:
	s_andn2_saveexec_b32 s9, s9
	s_cbranch_execz .LBB19_64
; %bb.63:
	flat_load_dword v2, v[0:1]
.LBB19_64:
	s_or_b32 exec_lo, exec_lo, s9
                                        ; implicit-def: $vgpr0_vgpr1
.LBB19_65:
	s_andn2_saveexec_b32 s8, s8
	s_cbranch_execz .LBB19_67
; %bb.66:
	flat_load_ushort v0, v[0:1]
	s_waitcnt vmcnt(0) lgkmcnt(0)
	v_cvt_f32_f16_e32 v2, v0
.LBB19_67:
	s_or_b32 exec_lo, exec_lo, s8
.LBB19_68:
	s_or_b32 exec_lo, exec_lo, s7
                                        ; implicit-def: $vgpr3
                                        ; implicit-def: $vgpr0_vgpr1
.LBB19_69:
	s_andn2_saveexec_b32 s6, s6
	s_cbranch_execz .LBB19_87
; %bb.70:
	s_waitcnt vmcnt(0) lgkmcnt(0)
	v_mov_b32_e32 v2, 1
	v_cmp_gt_i16_sdwa s7, v3, v2 src0_sel:BYTE_0 src1_sel:DWORD
                                        ; implicit-def: $vgpr2
	s_and_saveexec_b32 s8, s7
	s_xor_b32 s7, exec_lo, s8
	s_cbranch_execz .LBB19_80
; %bb.71:
	v_mov_b32_e32 v2, 2
	v_cmp_gt_i16_sdwa s8, v3, v2 src0_sel:BYTE_0 src1_sel:DWORD
                                        ; implicit-def: $vgpr2
	s_and_saveexec_b32 s9, s8
	s_xor_b32 s8, exec_lo, s9
	s_cbranch_execz .LBB19_77
; %bb.72:
	;; [unrolled: 7-line block ×3, first 2 shown]
	flat_load_dwordx2 v[0:1], v[0:1]
	s_waitcnt vmcnt(0) lgkmcnt(0)
	v_xor_b32_e32 v2, v0, v1
	v_ffbh_i32_e32 v3, v1
	v_ashrrev_i32_e32 v2, 31, v2
	v_add_nc_u32_e32 v3, -1, v3
	v_add_nc_u32_e32 v2, 32, v2
	v_min_u32_e32 v2, v3, v2
	v_lshlrev_b64 v[0:1], v2, v[0:1]
	v_min_u32_e32 v0, 1, v0
	v_or_b32_e32 v0, v1, v0
	v_sub_nc_u32_e32 v1, 32, v2
	v_cvt_f32_i32_e32 v0, v0
	v_ldexp_f32 v2, v0, v1
                                        ; implicit-def: $vgpr0_vgpr1
.LBB19_74:
	s_andn2_saveexec_b32 s9, s9
	s_cbranch_execz .LBB19_76
; %bb.75:
	flat_load_dword v0, v[0:1]
	s_waitcnt vmcnt(0) lgkmcnt(0)
	v_cvt_f32_i32_e32 v2, v0
.LBB19_76:
	s_or_b32 exec_lo, exec_lo, s9
                                        ; implicit-def: $vgpr0_vgpr1
.LBB19_77:
	s_andn2_saveexec_b32 s8, s8
	s_cbranch_execz .LBB19_79
; %bb.78:
	flat_load_sshort v0, v[0:1]
	s_waitcnt vmcnt(0) lgkmcnt(0)
	v_cvt_f32_i32_e32 v2, v0
.LBB19_79:
	s_or_b32 exec_lo, exec_lo, s8
                                        ; implicit-def: $vgpr0_vgpr1
                                        ; implicit-def: $vgpr3
.LBB19_80:
	s_andn2_saveexec_b32 s7, s7
	s_cbranch_execz .LBB19_86
; %bb.81:
	v_mov_b32_e32 v2, 0
	v_cmp_gt_i16_sdwa s8, v3, v2 src0_sel:BYTE_0 src1_sel:DWORD
                                        ; implicit-def: $vgpr2
	s_and_saveexec_b32 s9, s8
	s_xor_b32 s8, exec_lo, s9
	s_cbranch_execz .LBB19_83
; %bb.82:
	flat_load_sbyte v0, v[0:1]
	s_waitcnt vmcnt(0) lgkmcnt(0)
	v_cvt_f32_i32_e32 v2, v0
                                        ; implicit-def: $vgpr0_vgpr1
.LBB19_83:
	s_andn2_saveexec_b32 s8, s8
	s_cbranch_execz .LBB19_85
; %bb.84:
	flat_load_ubyte v0, v[0:1]
	s_waitcnt vmcnt(0) lgkmcnt(0)
	v_cvt_f32_ubyte0_e32 v2, v0
.LBB19_85:
	s_or_b32 exec_lo, exec_lo, s8
.LBB19_86:
	s_or_b32 exec_lo, exec_lo, s7
.LBB19_87:
	s_or_b32 exec_lo, exec_lo, s6
	s_or_b32 s5, s5, exec_lo
	s_or_b32 exec_lo, exec_lo, s4
                                        ; implicit-def: $vgpr0
	s_and_saveexec_b32 s8, s5
	s_cbranch_execnz .LBB19_40
.LBB19_88:
	s_or_b32 exec_lo, exec_lo, s8
	s_waitcnt vmcnt(0) lgkmcnt(0)
	s_setpc_b64 s[30:31]
.LBB19_89:
	s_andn2_saveexec_b32 s6, s6
	s_cbranch_execz .LBB19_35
.LBB19_90:
	v_mov_b32_e32 v2, 22
	s_mov_b32 s9, s7
	v_cmp_gt_i16_sdwa s5, v3, v2 src0_sel:BYTE_0 src1_sel:DWORD
                                        ; implicit-def: $vgpr2
	s_and_saveexec_b32 s10, s5
	s_xor_b32 s5, exec_lo, s10
	s_cbranch_execz .LBB19_106
; %bb.91:
	v_mov_b32_e32 v2, 23
	v_cmp_gt_i16_sdwa s9, v3, v2 src0_sel:BYTE_0 src1_sel:DWORD
                                        ; implicit-def: $vgpr2
	s_and_saveexec_b32 s10, s9
	s_xor_b32 s9, exec_lo, s10
	s_cbranch_execz .LBB19_103
; %bb.92:
	v_mov_b32_e32 v2, 24
	v_cmp_gt_i16_sdwa s10, v3, v2 src0_sel:BYTE_0 src1_sel:DWORD
                                        ; implicit-def: $vgpr2
	s_and_saveexec_b32 s11, s10
	s_xor_b32 s10, exec_lo, s11
	s_cbranch_execz .LBB19_100
; %bb.93:
	flat_load_ubyte v3, v[0:1]
	s_mov_b32 s11, 0
	s_mov_b32 s12, exec_lo
	s_waitcnt vmcnt(0) lgkmcnt(0)
	v_cmpx_lt_i16_e32 0x7f, v3
	s_xor_b32 s12, exec_lo, s12
	s_cbranch_execz .LBB19_141
; %bb.94:
	s_mov_b32 s11, -1
	s_mov_b32 s13, exec_lo
	v_cmpx_eq_u16_e32 0x80, v3
; %bb.95:
	s_xor_b32 s11, exec_lo, -1
; %bb.96:
	s_or_b32 exec_lo, exec_lo, s13
	s_and_b32 s11, s11, exec_lo
	s_or_saveexec_b32 s12, s12
	v_mov_b32_e32 v2, 0x7f800001
	s_xor_b32 exec_lo, exec_lo, s12
	s_cbranch_execnz .LBB19_142
.LBB19_97:
	s_or_b32 exec_lo, exec_lo, s12
	s_and_saveexec_b32 s12, s11
	s_cbranch_execz .LBB19_99
.LBB19_98:
	v_and_b32_e32 v2, 0xffff, v3
	v_lshlrev_b32_e32 v3, 24, v3
	v_and_b32_e32 v4, 3, v2
	v_bfe_u32 v7, v2, 2, 5
	v_and_b32_e32 v3, 0x80000000, v3
	v_ffbh_u32_e32 v5, v4
	v_cmp_eq_u32_e32 vcc_lo, 0, v7
	v_min_u32_e32 v5, 32, v5
	v_subrev_nc_u32_e32 v6, 29, v5
	v_sub_nc_u32_e32 v5, 30, v5
	v_lshlrev_b32_e32 v2, v6, v2
	v_cndmask_b32_e32 v5, v7, v5, vcc_lo
	v_and_b32_e32 v2, 3, v2
	v_cndmask_b32_e32 v2, v4, v2, vcc_lo
	v_lshl_add_u32 v4, v5, 23, 0x37800000
	v_lshlrev_b32_e32 v2, 21, v2
	v_or3_b32 v2, v3, v4, v2
.LBB19_99:
	s_or_b32 exec_lo, exec_lo, s12
.LBB19_100:
	s_andn2_saveexec_b32 s10, s10
	s_cbranch_execz .LBB19_102
; %bb.101:
	flat_load_ubyte v2, v[0:1]
	s_waitcnt vmcnt(0) lgkmcnt(0)
	v_lshlrev_b32_e32 v2, 24, v2
	v_and_b32_e32 v3, 0x7f000000, v2
	v_ffbh_u32_e32 v4, v3
	v_add_nc_u32_e32 v6, 0x1000000, v3
	v_cmp_ne_u32_e32 vcc_lo, 0, v3
	v_min_u32_e32 v4, 32, v4
	v_sub_nc_u32_e64 v4, v4, 4 clamp
	v_lshlrev_b32_e32 v5, v4, v3
	v_lshlrev_b32_e32 v4, 23, v4
	v_lshrrev_b32_e32 v5, 4, v5
	v_sub_nc_u32_e32 v4, v5, v4
	v_ashrrev_i32_e32 v5, 8, v6
	v_add_nc_u32_e32 v4, 0x3c000000, v4
	v_and_or_b32 v4, 0x7f800000, v5, v4
	v_cndmask_b32_e32 v3, 0, v4, vcc_lo
	v_and_or_b32 v2, 0x80000000, v2, v3
.LBB19_102:
	s_or_b32 exec_lo, exec_lo, s10
.LBB19_103:
	s_andn2_saveexec_b32 s9, s9
	s_cbranch_execz .LBB19_105
; %bb.104:
	flat_load_ubyte v2, v[0:1]
	s_waitcnt vmcnt(0) lgkmcnt(0)
	v_lshlrev_b32_e32 v3, 25, v2
	v_lshlrev_b16 v2, 8, v2
	v_lshrrev_b32_e32 v4, 4, v3
	v_and_or_b32 v5, 0x7f00, v2, 0.5
	v_cmp_gt_u32_e32 vcc_lo, 0x8000000, v3
	v_bfe_i32 v2, v2, 0, 16
	v_or_b32_e32 v4, 0x70000000, v4
	v_add_f32_e32 v5, -0.5, v5
	v_mul_f32_e32 v4, 0x7800000, v4
	v_cndmask_b32_e32 v3, v4, v5, vcc_lo
	v_and_or_b32 v2, 0x80000000, v2, v3
.LBB19_105:
	s_or_b32 exec_lo, exec_lo, s9
	s_or_b32 s9, s7, exec_lo
                                        ; implicit-def: $vgpr3
.LBB19_106:
	s_or_saveexec_b32 s5, s5
	s_mov_b32 s10, 0
	s_mov_b32 s11, s8
	s_xor_b32 exec_lo, exec_lo, s5
	s_cbranch_execz .LBB19_114
; %bb.107:
	v_mov_b32_e32 v2, 14
	s_mov_b32 s10, s8
	s_mov_b32 s11, s9
	v_cmp_gt_i16_sdwa s12, v3, v2 src0_sel:BYTE_0 src1_sel:DWORD
                                        ; implicit-def: $vgpr2
	s_and_saveexec_b32 s13, s12
	s_xor_b32 s12, exec_lo, s13
	s_cbranch_execz .LBB19_111
; %bb.108:
	v_mov_b32_e32 v2, 15
	s_mov_b32 s10, -1
	s_mov_b32 s11, s9
	v_cmp_eq_u16_sdwa s14, v3, v2 src0_sel:BYTE_0 src1_sel:DWORD
                                        ; implicit-def: $vgpr2
	s_and_saveexec_b32 s13, s14
	s_cbranch_execz .LBB19_110
; %bb.109:
	flat_load_ushort v2, v[0:1]
	s_or_b32 s11, s9, exec_lo
	s_xor_b32 s10, exec_lo, -1
	s_waitcnt vmcnt(0) lgkmcnt(0)
	v_lshlrev_b32_e32 v2, 16, v2
.LBB19_110:
	s_or_b32 exec_lo, exec_lo, s13
	s_andn2_b32 s13, s9, exec_lo
	s_and_b32 s11, s11, exec_lo
	s_andn2_b32 s14, s8, exec_lo
	s_and_b32 s10, s10, exec_lo
	s_or_b32 s11, s13, s11
	s_or_b32 s10, s14, s10
                                        ; implicit-def: $vgpr3
.LBB19_111:
	s_or_saveexec_b32 s12, s12
	s_mov_b32 s13, 0
	s_xor_b32 exec_lo, exec_lo, s12
; %bb.112:
	v_mov_b32_e32 v4, 11
	s_andn2_b32 s10, s10, exec_lo
	s_mov_b32 s13, exec_lo
	v_cmp_ne_u16_sdwa s14, v3, v4 src0_sel:BYTE_0 src1_sel:DWORD
	s_and_b32 s14, s14, exec_lo
	s_or_b32 s10, s10, s14
; %bb.113:
	s_or_b32 exec_lo, exec_lo, s12
	s_andn2_b32 s9, s9, exec_lo
	s_and_b32 s11, s11, exec_lo
	s_and_b32 s12, s10, exec_lo
	s_or_b32 s9, s9, s11
	s_andn2_b32 s11, s8, exec_lo
	s_and_b32 s10, s13, exec_lo
	s_or_b32 s11, s11, s12
.LBB19_114:
	s_or_b32 exec_lo, exec_lo, s5
	s_andn2_b32 s5, s7, exec_lo
	s_and_b32 s7, s9, exec_lo
	s_andn2_b32 s8, s8, exec_lo
	s_and_b32 s9, s11, exec_lo
	s_or_b32 s7, s5, s7
	s_and_b32 s5, s10, exec_lo
	s_or_b32 s8, s8, s9
	s_or_b32 exec_lo, exec_lo, s6
	s_and_saveexec_b32 s6, s8
	s_cbranch_execz .LBB19_36
.LBB19_115:
	s_trap 2
	; divergent unreachable
	s_andn2_b32 s5, s5, exec_lo
	s_or_b32 exec_lo, exec_lo, s6
	s_and_saveexec_b32 s6, s5
	s_xor_b32 s5, exec_lo, s6
	s_cbranch_execnz .LBB19_37
	s_branch .LBB19_38
.LBB19_116:
	s_or_saveexec_b32 s4, s10
	v_mul_f32_e64 v8, 0x3f22f983, |v0|
	s_xor_b32 exec_lo, exec_lo, s4
.LBB19_117:
	v_rndne_f32_e32 v4, v8
	v_fma_f32 v3, 0xbfc90fda, v4, |v0|
	v_fmamk_f32 v3, v4, 0xb3a22168, v3
	v_fmamk_f32 v3, v4, 0xa7c234c4, v3
	v_cvt_i32_f32_e32 v4, v4
; %bb.118:
	s_or_b32 exec_lo, exec_lo, s4
                                        ; implicit-def: $vgpr7
                                        ; implicit-def: $vgpr5
	s_and_saveexec_b32 s4, s6
	s_xor_b32 s6, exec_lo, s4
	s_cbranch_execz .LBB19_120
; %bb.119:
	s_mov_b32 s4, 0x7fffff
	v_mov_b32_e32 v9, 0
	v_and_or_b32 v15, v1, s4, 0x800000
	v_mad_u64_u32 v[7:8], null, 0xfe5163ab, v15, 0
	v_mad_u64_u32 v[10:11], null, 0x3c439041, v15, v[8:9]
	v_mov_b32_e32 v8, v11
	v_mad_u64_u32 v[11:12], null, 0xdb629599, v15, v[8:9]
	v_mov_b32_e32 v8, v12
	;; [unrolled: 2-line block ×3, first 2 shown]
	v_add_nc_u32_e32 v13, 0xffffff88, v6
	v_mad_u64_u32 v[5:6], null, 0xfc2757d1, v15, v[8:9]
	v_cmp_lt_u32_e32 vcc_lo, 63, v13
	v_cndmask_b32_e64 v14, 0, 0xffffffc0, vcc_lo
	v_mov_b32_e32 v8, v6
	v_cndmask_b32_e32 v10, v12, v10, vcc_lo
	v_cndmask_b32_e32 v7, v11, v7, vcc_lo
	v_add_nc_u32_e32 v6, v14, v13
	v_mad_u64_u32 v[13:14], null, 0x4e441529, v15, v[8:9]
	v_cmp_lt_u32_e64 s4, 31, v6
	v_mov_b32_e32 v8, v14
	v_cndmask_b32_e64 v16, 0, 0xffffffe0, s4
	v_cndmask_b32_e64 v7, v10, v7, s4
	v_mad_u64_u32 v[8:9], null, 0xa2f9836e, v15, v[8:9]
	v_add_nc_u32_e32 v6, v16, v6
	v_cndmask_b32_e32 v15, v13, v12, vcc_lo
	v_cmp_lt_u32_e64 s5, 31, v6
	v_cndmask_b32_e32 v8, v8, v5, vcc_lo
	v_cndmask_b32_e32 v9, v9, v13, vcc_lo
	;; [unrolled: 1-line block ×3, first 2 shown]
	v_cndmask_b32_e64 v14, 0, 0xffffffe0, s5
	v_cndmask_b32_e64 v12, v8, v15, s4
	;; [unrolled: 1-line block ×5, first 2 shown]
	v_add_nc_u32_e32 v6, v14, v6
	v_cndmask_b32_e64 v8, v8, v12, s5
	v_cndmask_b32_e64 v12, v12, v9, s5
	;; [unrolled: 1-line block ×3, first 2 shown]
	v_sub_nc_u32_e32 v13, 32, v6
	v_cmp_eq_u32_e32 vcc_lo, 0, v6
	v_cndmask_b32_e64 v5, v5, v7, s5
	v_alignbit_b32 v14, v8, v12, v13
	v_alignbit_b32 v11, v12, v9, v13
	v_cndmask_b32_e32 v6, v14, v8, vcc_lo
	v_cndmask_b32_e32 v8, v11, v12, vcc_lo
	v_alignbit_b32 v12, v9, v5, v13
	v_bfe_u32 v10, v6, 29, 1
	v_alignbit_b32 v7, v6, v8, 30
	v_cndmask_b32_e32 v9, v12, v9, vcc_lo
	v_sub_nc_u32_e32 v11, 0, v10
	v_alignbit_b32 v8, v8, v9, 30
	v_alignbit_b32 v5, v9, v5, 30
	v_xor_b32_e32 v7, v7, v11
	v_xor_b32_e32 v8, v8, v11
	;; [unrolled: 1-line block ×3, first 2 shown]
	v_lshrrev_b32_e32 v11, 29, v6
	v_ffbh_u32_e32 v12, v7
	v_lshrrev_b32_e32 v6, 30, v6
	v_min_u32_e32 v12, 32, v12
	v_sub_nc_u32_e32 v9, 31, v12
	v_lshlrev_b32_e32 v13, 23, v12
	v_alignbit_b32 v7, v7, v8, v9
	v_alignbit_b32 v5, v8, v5, v9
	v_lshlrev_b32_e32 v8, 31, v11
	v_alignbit_b32 v9, v7, v5, 9
	v_or_b32_e32 v11, 0.5, v8
	v_lshrrev_b32_e32 v7, 9, v7
	v_or_b32_e32 v8, 0x33000000, v8
	v_ffbh_u32_e32 v14, v9
	v_sub_nc_u32_e32 v11, v11, v13
	v_min_u32_e32 v13, 32, v14
	v_or_b32_e32 v7, v7, v11
	v_not_b32_e32 v11, v13
	v_mul_f32_e32 v14, 0x3fc90fda, v7
	v_add_lshl_u32 v12, v13, v12, 23
	v_alignbit_b32 v5, v9, v5, v11
	v_fma_f32 v9, 0x3fc90fda, v7, -v14
	v_sub_nc_u32_e32 v8, v8, v12
	v_lshrrev_b32_e32 v5, 9, v5
	v_fmamk_f32 v7, v7, 0x33a22168, v9
	v_or_b32_e32 v5, v8, v5
                                        ; implicit-def: $vgpr8
	v_fmac_f32_e32 v7, 0x3fc90fda, v5
	v_add_f32_e32 v5, v14, v7
	v_add_nc_u32_e32 v7, v10, v6
	s_andn2_saveexec_b32 s4, s6
	s_cbranch_execnz .LBB19_121
	s_branch .LBB19_122
.LBB19_120:
	s_andn2_saveexec_b32 s4, s6
.LBB19_121:
	v_rndne_f32_e32 v6, v8
	v_fma_f32 v5, 0xbfc90fda, v6, |v0|
	v_cvt_i32_f32_e32 v7, v6
	v_fmamk_f32 v5, v6, 0xb3a22168, v5
	v_fmamk_f32 v5, v6, 0xa7c234c4, v5
.LBB19_122:
	s_or_b32 exec_lo, exec_lo, s4
	v_div_scale_f32 v6, null, v2, v2, 0x40a00000
	v_div_scale_f32 v10, vcc_lo, 0x40a00000, v2, 0x40a00000
	s_mov_b32 s4, 0xb94c1982
	v_rcp_f32_e32 v8, v6
	v_mul_f32_e32 v17, 0x4f800000, v2
	s_mov_b32 s5, 0x37d75334
	v_and_b32_e32 v12, 1, v7
	v_lshlrev_b32_e32 v7, 30, v7
	v_xor_b32_e32 v1, v1, v0
	v_and_b32_e32 v7, 0x80000000, v7
	v_fma_f32 v9, -v6, v8, 1.0
	v_fmac_f32_e32 v8, v9, v8
	v_mul_f32_e32 v9, v10, v8
	v_fma_f32 v11, -v6, v9, v10
	v_fmac_f32_e32 v9, v11, v8
	v_mul_f32_e32 v11, v5, v5
	v_fma_f32 v6, -v6, v9, v10
	v_fmaak_f32 v20, s4, v11, 0x3c0881c4
	v_fmaak_f32 v21, s5, v11, 0xbab64f3b
	v_div_fmas_f32 v6, v6, v8, v9
	v_mul_f32_e32 v8, v3, v3
	v_fmaak_f32 v21, v11, v21, 0x3d2aabf7
	v_and_b32_e32 v9, 1, v4
	v_fmaak_f32 v20, v11, v20, 0xbe2aaa9d
	v_div_fixup_f32 v6, v6, v2, 0x40a00000
	v_fmaak_f32 v18, s4, v8, 0x3c0881c4
	v_cmp_gt_f32_e64 s4, 0xf800000, v2
	v_fmaak_f32 v19, s5, v8, 0xbab64f3b
	v_fmaak_f32 v21, v11, v21, 0xbf000004
	v_mul_f32_e32 v10, v6, v6
	v_fmaak_f32 v18, v8, v18, 0xbe2aaa9d
	v_cndmask_b32_e64 v2, v2, v17, s4
	v_fmaak_f32 v19, v8, v19, 0x3d2aabf7
	v_mul_f32_e32 v20, v11, v20
	v_fmaak_f32 v13, 0, v10, 0x3d513fd3
	v_fmaak_f32 v14, 0, v10, 0x3a15c4d9
	;; [unrolled: 1-line block ×4, first 2 shown]
	v_mul_f32_e32 v18, v8, v18
	v_fmaak_f32 v13, v10, v13, 0x409f6dae
	v_fmaak_f32 v14, v10, v14, 0x3d8cfeeb
	;; [unrolled: 1-line block ×9, first 2 shown]
	v_fmac_f32_e32 v3, v3, v18
	v_fmaak_f32 v13, v10, v13, 0x43b763ca
	v_fmaak_f32 v14, v10, v14, 0x40a25d18
	;; [unrolled: 1-line block ×4, first 2 shown]
	v_sqrt_f32_e32 v24, v2
	v_fmaak_f32 v13, v10, v13, 0x4431b6ce
	v_fmaak_f32 v14, v10, v14, 0x410665cf
	;; [unrolled: 1-line block ×4, first 2 shown]
	v_fma_f32 v8, v8, v19, 1.0
	v_fmaak_f32 v13, v10, v13, 0x44155f56
	v_fmaak_f32 v14, v10, v14, 0x40a6b6ea
	;; [unrolled: 1-line block ×4, first 2 shown]
	v_fma_f32 v11, v11, v21, 1.0
	v_fmaak_f32 v13, v10, v13, 0x4353b052
	v_fma_f32 v14, v10, v14, 1.0
	v_fma_f32 v15, v10, v15, 1.0
	v_fmaak_f32 v16, v10, v16, 0x43a80bfb
	v_cmp_eq_u32_e64 s6, 0, v9
	v_fmaak_f32 v10, v10, v13, 0x41c9a7fa
	v_lshlrev_b32_e32 v4, 30, v4
	v_div_scale_f32 v13, null, v14, v14, v15
	v_div_scale_f32 v27, vcc_lo, v15, v14, v15
	v_div_scale_f32 v22, null, v16, v16, v10
	v_rcp_f32_e32 v17, v13
	v_fmac_f32_e32 v5, v5, v20
	v_cndmask_b32_e64 v3, -v3, v8, s6
	v_rcp_f32_e32 v23, v22
	v_cmp_eq_u32_e64 s6, 0, v12
	v_and_b32_e32 v4, 0x80000000, v4
	v_add_nc_u32_e32 v20, -1, v24
	v_cndmask_b32_e64 v5, v11, v5, s6
	v_fma_f32 v25, -v13, v17, 1.0
	v_fma_f32 v8, -v20, v24, v2
	v_xor_b32_e32 v3, v4, v3
	v_fma_f32 v26, -v22, v23, 1.0
	v_xor3_b32 v1, v1, v7, v5
	v_fmac_f32_e32 v17, v25, v17
	v_div_scale_f32 v25, s5, v10, v16, v10
	v_fmac_f32_e32 v23, v26, v23
	v_add_nc_u32_e32 v26, 1, v24
	v_mul_f32_e32 v18, v27, v17
	v_mul_f32_e32 v19, v25, v23
	v_fma_f32 v9, -v26, v24, v2
	v_fma_f32 v21, -v13, v18, v27
	;; [unrolled: 1-line block ×3, first 2 shown]
	v_fmac_f32_e32 v18, v21, v17
	v_fmac_f32_e32 v19, v28, v23
	v_fma_f32 v11, -v13, v18, v27
	v_fma_f32 v4, -v22, v19, v25
	v_div_fmas_f32 v11, v11, v17, v18
	s_mov_b32 vcc_lo, s5
	v_cmp_ge_f32_e64 s5, 0, v8
	v_div_fmas_f32 v4, v4, v23, v19
	v_cmp_class_f32_e64 vcc_lo, v0, 0x1f8
	v_cndmask_b32_e64 v0, v24, v20, s5
	v_div_fixup_f32 v4, v4, v16, v10
	v_cmp_lt_f32_e64 s5, 0, v9
	v_cndmask_b32_e32 v1, 0x7fc00000, v1, vcc_lo
	v_cndmask_b32_e32 v3, 0x7fc00000, v3, vcc_lo
	v_cmp_class_f32_e64 vcc_lo, v2, 0x260
	v_mul_f32_e32 v4, v6, v4
	v_cndmask_b32_e64 v0, v0, v26, s5
	v_div_fixup_f32 v6, v11, v14, v15
	v_mul_f32_e32 v1, v4, v1
	v_mul_f32_e32 v5, 0x37800000, v0
	v_fma_f32 v1, v6, v3, -v1
	v_cndmask_b32_e64 v0, v0, v5, s4
	v_mul_f32_e32 v1, 0x3f4c422a, v1
	v_cndmask_b32_e32 v0, v0, v2, vcc_lo
	v_div_scale_f32 v2, null, v0, v0, v1
	v_rcp_f32_e32 v3, v2
	v_fma_f32 v4, -v2, v3, 1.0
	v_fmac_f32_e32 v3, v4, v3
	v_div_scale_f32 v4, vcc_lo, v1, v0, v1
	v_mul_f32_e32 v5, v4, v3
	v_fma_f32 v6, -v2, v5, v4
	v_fmac_f32_e32 v5, v6, v3
	v_fma_f32 v2, -v2, v5, v4
	v_div_fmas_f32 v2, v2, v3, v5
	v_div_fixup_f32 v0, v2, v0, v1
.LBB19_123:
	s_or_b32 exec_lo, exec_lo, s9
                                        ; implicit-def: $vgpr2
.LBB19_124:
	s_andn2_saveexec_b32 s9, s7
	s_cbranch_execz .LBB19_138
; %bb.125:
	s_mov_b32 s4, exec_lo
                                        ; implicit-def: $vgpr0
	v_cmpx_le_f32_e32 0xc0a00000, v2
	s_xor_b32 s4, exec_lo, s4
	s_cbranch_execz .LBB19_127
; %bb.126:
	v_mul_f32_e32 v0, v2, v2
	v_fmaak_f32 v1, 0, v0, 0x441b3589
	v_fmaak_f32 v3, 0, v0, 0xce5691e2
	;; [unrolled: 1-line block ×12, first 2 shown]
	v_div_scale_f32 v1, null, v0, v0, v3
	v_div_scale_f32 v6, vcc_lo, v3, v0, v3
	v_rcp_f32_e32 v4, v1
	v_fma_f32 v5, -v1, v4, 1.0
	v_fmac_f32_e32 v4, v5, v4
	v_mul_f32_e32 v5, v6, v4
	v_fma_f32 v7, -v1, v5, v6
	v_fmac_f32_e32 v5, v7, v4
	v_fma_f32 v1, -v1, v5, v6
	v_div_fmas_f32 v1, v1, v4, v5
	v_div_fixup_f32 v0, v1, v0, v3
	v_fmaak_f32 v1, v2, v2, 0xc16ae95a
	v_mul_f32_e64 v0, v0, -v2
	v_mul_f32_e32 v0, v1, v0
	v_fmaak_f32 v1, v2, v2, 0xc244dfb3
                                        ; implicit-def: $vgpr2
	v_mul_f32_e32 v0, v1, v0
.LBB19_127:
	s_andn2_saveexec_b32 s10, s4
	s_cbranch_execz .LBB19_137
; %bb.128:
	v_sub_f32_e32 v0, 0xc016cbe4, v2
                                        ; implicit-def: $vgpr4
                                        ; implicit-def: $vgpr3
	v_and_b32_e32 v1, 0x7fffffff, v0
	v_cmp_ngt_f32_e64 s6, 0x48000000, |v0|
	v_lshrrev_b32_e32 v6, 23, v1
	s_and_saveexec_b32 s4, s6
	s_xor_b32 s7, exec_lo, s4
	s_cbranch_execz .LBB19_130
; %bb.129:
	s_mov_b32 s4, 0x7fffff
	v_mov_b32_e32 v5, 0
	v_and_or_b32 v13, v1, s4, 0x800000
	v_add_nc_u32_e32 v12, 0xffffff88, v6
	v_mad_u64_u32 v[3:4], null, 0xfe5163ab, v13, 0
	v_cmp_lt_u32_e32 vcc_lo, 63, v12
	v_cndmask_b32_e64 v14, 0, 0xffffffc0, vcc_lo
	v_mad_u64_u32 v[7:8], null, 0x3c439041, v13, v[4:5]
	v_add_nc_u32_e32 v14, v14, v12
	v_mov_b32_e32 v4, v8
	v_cmp_lt_u32_e64 s4, 31, v14
	v_mad_u64_u32 v[8:9], null, 0xdb629599, v13, v[4:5]
	v_cndmask_b32_e64 v15, 0, 0xffffffe0, s4
	v_mov_b32_e32 v4, v9
	v_cndmask_b32_e32 v3, v8, v3, vcc_lo
	v_mad_u64_u32 v[9:10], null, 0xf534ddc0, v13, v[4:5]
	v_mov_b32_e32 v4, v10
	v_cndmask_b32_e32 v7, v9, v7, vcc_lo
	v_mad_u64_u32 v[10:11], null, 0xfc2757d1, v13, v[4:5]
	v_cndmask_b32_e64 v3, v7, v3, s4
	v_mov_b32_e32 v4, v11
	v_mad_u64_u32 v[11:12], null, 0x4e441529, v13, v[4:5]
	v_mov_b32_e32 v4, v12
	v_add_nc_u32_e32 v12, v15, v14
	v_cndmask_b32_e32 v14, v11, v9, vcc_lo
	v_mad_u64_u32 v[4:5], null, 0xa2f9836e, v13, v[4:5]
	v_cmp_lt_u32_e64 s5, 31, v12
	v_cndmask_b32_e64 v13, 0, 0xffffffe0, s5
	v_cndmask_b32_e32 v4, v4, v10, vcc_lo
	v_cndmask_b32_e32 v5, v5, v11, vcc_lo
	;; [unrolled: 1-line block ×3, first 2 shown]
	v_add_nc_u32_e32 v11, v13, v12
	v_cndmask_b32_e64 v9, v4, v14, s4
	v_cndmask_b32_e64 v4, v5, v4, s4
	;; [unrolled: 1-line block ×4, first 2 shown]
	v_sub_nc_u32_e32 v12, 32, v11
	v_cmp_eq_u32_e32 vcc_lo, 0, v11
	v_cndmask_b32_e64 v4, v4, v9, s5
	v_cndmask_b32_e64 v9, v9, v5, s5
	;; [unrolled: 1-line block ×4, first 2 shown]
	v_alignbit_b32 v13, v4, v9, v12
	v_alignbit_b32 v8, v9, v5, v12
	;; [unrolled: 1-line block ×3, first 2 shown]
	v_cndmask_b32_e32 v4, v13, v4, vcc_lo
	v_cndmask_b32_e32 v7, v8, v9, vcc_lo
	;; [unrolled: 1-line block ×3, first 2 shown]
	v_bfe_u32 v8, v4, 29, 1
	v_alignbit_b32 v9, v4, v7, 30
	v_alignbit_b32 v7, v7, v5, 30
	;; [unrolled: 1-line block ×3, first 2 shown]
	v_sub_nc_u32_e32 v10, 0, v8
	v_xor_b32_e32 v9, v9, v10
	v_xor_b32_e32 v5, v7, v10
	v_xor_b32_e32 v3, v3, v10
	v_lshrrev_b32_e32 v10, 29, v4
	v_lshrrev_b32_e32 v4, 30, v4
	v_ffbh_u32_e32 v11, v9
	v_add_nc_u32_e32 v4, v8, v4
	v_min_u32_e32 v11, 32, v11
	v_sub_nc_u32_e32 v7, 31, v11
	v_lshlrev_b32_e32 v12, 23, v11
	v_alignbit_b32 v9, v9, v5, v7
	v_alignbit_b32 v3, v5, v3, v7
	v_lshlrev_b32_e32 v5, 31, v10
	v_alignbit_b32 v7, v9, v3, 9
	v_or_b32_e32 v10, 0.5, v5
	v_lshrrev_b32_e32 v9, 9, v9
	v_or_b32_e32 v5, 0x33000000, v5
	v_ffbh_u32_e32 v13, v7
	v_sub_nc_u32_e32 v10, v10, v12
	v_min_u32_e32 v12, 32, v13
	v_or_b32_e32 v9, v9, v10
	v_not_b32_e32 v10, v12
	v_mul_f32_e32 v13, 0x3fc90fda, v9
	v_add_lshl_u32 v11, v12, v11, 23
	v_alignbit_b32 v3, v7, v3, v10
	v_fma_f32 v7, 0x3fc90fda, v9, -v13
	v_sub_nc_u32_e32 v5, v5, v11
	v_lshrrev_b32_e32 v3, 9, v3
	v_fmamk_f32 v7, v9, 0x33a22168, v7
	v_or_b32_e32 v3, v5, v3
	v_fmac_f32_e32 v7, 0x3fc90fda, v3
	v_add_f32_e32 v3, v13, v7
	s_or_saveexec_b32 s4, s7
	v_mul_f32_e64 v8, 0x3f22f983, |v0|
	s_xor_b32 exec_lo, exec_lo, s4
	s_branch .LBB19_131
.LBB19_130:
	s_or_saveexec_b32 s4, s7
	v_mul_f32_e64 v8, 0x3f22f983, |v0|
	s_xor_b32 exec_lo, exec_lo, s4
.LBB19_131:
	v_rndne_f32_e32 v4, v8
	v_fma_f32 v3, 0xbfc90fda, v4, |v0|
	v_fmamk_f32 v3, v4, 0xb3a22168, v3
	v_fmamk_f32 v3, v4, 0xa7c234c4, v3
	v_cvt_i32_f32_e32 v4, v4
; %bb.132:
	s_or_b32 exec_lo, exec_lo, s4
                                        ; implicit-def: $vgpr7
                                        ; implicit-def: $vgpr5
	s_and_saveexec_b32 s4, s6
	s_xor_b32 s6, exec_lo, s4
	s_cbranch_execz .LBB19_134
; %bb.133:
	s_mov_b32 s4, 0x7fffff
	v_mov_b32_e32 v9, 0
	v_and_or_b32 v15, v1, s4, 0x800000
	v_mad_u64_u32 v[7:8], null, 0xfe5163ab, v15, 0
	v_mad_u64_u32 v[10:11], null, 0x3c439041, v15, v[8:9]
	v_mov_b32_e32 v8, v11
	v_mad_u64_u32 v[11:12], null, 0xdb629599, v15, v[8:9]
	v_mov_b32_e32 v8, v12
	;; [unrolled: 2-line block ×3, first 2 shown]
	v_add_nc_u32_e32 v13, 0xffffff88, v6
	v_mad_u64_u32 v[5:6], null, 0xfc2757d1, v15, v[8:9]
	v_cmp_lt_u32_e32 vcc_lo, 63, v13
	v_cndmask_b32_e64 v14, 0, 0xffffffc0, vcc_lo
	v_mov_b32_e32 v8, v6
	v_cndmask_b32_e32 v10, v12, v10, vcc_lo
	v_cndmask_b32_e32 v7, v11, v7, vcc_lo
	v_add_nc_u32_e32 v6, v14, v13
	v_mad_u64_u32 v[13:14], null, 0x4e441529, v15, v[8:9]
	v_cmp_lt_u32_e64 s4, 31, v6
	v_mov_b32_e32 v8, v14
	v_cndmask_b32_e64 v16, 0, 0xffffffe0, s4
	v_cndmask_b32_e64 v7, v10, v7, s4
	v_mad_u64_u32 v[8:9], null, 0xa2f9836e, v15, v[8:9]
	v_add_nc_u32_e32 v6, v16, v6
	v_cndmask_b32_e32 v15, v13, v12, vcc_lo
	v_cmp_lt_u32_e64 s5, 31, v6
	v_cndmask_b32_e32 v8, v8, v5, vcc_lo
	v_cndmask_b32_e32 v9, v9, v13, vcc_lo
	;; [unrolled: 1-line block ×3, first 2 shown]
	v_cndmask_b32_e64 v14, 0, 0xffffffe0, s5
	v_cndmask_b32_e64 v12, v8, v15, s4
	;; [unrolled: 1-line block ×5, first 2 shown]
	v_add_nc_u32_e32 v6, v14, v6
	v_cndmask_b32_e64 v8, v8, v12, s5
	v_cndmask_b32_e64 v12, v12, v9, s5
	;; [unrolled: 1-line block ×3, first 2 shown]
	v_sub_nc_u32_e32 v13, 32, v6
	v_cmp_eq_u32_e32 vcc_lo, 0, v6
	v_cndmask_b32_e64 v5, v5, v7, s5
	v_alignbit_b32 v14, v8, v12, v13
	v_alignbit_b32 v11, v12, v9, v13
	v_cndmask_b32_e32 v6, v14, v8, vcc_lo
	v_cndmask_b32_e32 v8, v11, v12, vcc_lo
	v_alignbit_b32 v12, v9, v5, v13
	v_bfe_u32 v10, v6, 29, 1
	v_alignbit_b32 v7, v6, v8, 30
	v_cndmask_b32_e32 v9, v12, v9, vcc_lo
	v_sub_nc_u32_e32 v11, 0, v10
	v_alignbit_b32 v8, v8, v9, 30
	v_alignbit_b32 v5, v9, v5, 30
	v_xor_b32_e32 v7, v7, v11
	v_xor_b32_e32 v8, v8, v11
	;; [unrolled: 1-line block ×3, first 2 shown]
	v_lshrrev_b32_e32 v11, 29, v6
	v_ffbh_u32_e32 v12, v7
	v_lshrrev_b32_e32 v6, 30, v6
	v_min_u32_e32 v12, 32, v12
	v_sub_nc_u32_e32 v9, 31, v12
	v_lshlrev_b32_e32 v13, 23, v12
	v_alignbit_b32 v7, v7, v8, v9
	v_alignbit_b32 v5, v8, v5, v9
	v_lshlrev_b32_e32 v8, 31, v11
	v_alignbit_b32 v9, v7, v5, 9
	v_or_b32_e32 v11, 0.5, v8
	v_lshrrev_b32_e32 v7, 9, v7
	v_or_b32_e32 v8, 0x33000000, v8
	v_ffbh_u32_e32 v14, v9
	v_sub_nc_u32_e32 v11, v11, v13
	v_min_u32_e32 v13, 32, v14
	v_or_b32_e32 v7, v7, v11
	v_not_b32_e32 v11, v13
	v_mul_f32_e32 v14, 0x3fc90fda, v7
	v_add_lshl_u32 v12, v13, v12, 23
	v_alignbit_b32 v5, v9, v5, v11
	v_fma_f32 v9, 0x3fc90fda, v7, -v14
	v_sub_nc_u32_e32 v8, v8, v12
	v_lshrrev_b32_e32 v5, 9, v5
	v_fmamk_f32 v7, v7, 0x33a22168, v9
	v_or_b32_e32 v5, v8, v5
                                        ; implicit-def: $vgpr8
	v_fmac_f32_e32 v7, 0x3fc90fda, v5
	v_add_f32_e32 v5, v14, v7
	v_add_nc_u32_e32 v7, v10, v6
	s_andn2_saveexec_b32 s4, s6
	s_cbranch_execnz .LBB19_135
	s_branch .LBB19_136
.LBB19_134:
	s_andn2_saveexec_b32 s4, s6
.LBB19_135:
	v_rndne_f32_e32 v6, v8
	v_fma_f32 v5, 0xbfc90fda, v6, |v0|
	v_cvt_i32_f32_e32 v7, v6
	v_fmamk_f32 v5, v6, 0xb3a22168, v5
	v_fmamk_f32 v5, v6, 0xa7c234c4, v5
.LBB19_136:
	s_or_b32 exec_lo, exec_lo, s4
	v_div_scale_f32 v6, null, v2, v2, 0xc0a00000
	v_div_scale_f32 v10, vcc_lo, 0xc0a00000, v2, 0xc0a00000
	v_mul_f32_e32 v12, v3, v3
	v_rcp_f32_e32 v8, v6
	s_mov_b32 s5, 0xb94c1982
	s_mov_b32 s6, 0x37d75334
	v_div_scale_f32 v13, null, v2, v2, 0x40a00000
	v_fmaak_f32 v15, s5, v12, 0x3c0881c4
	v_fmaak_f32 v16, s6, v12, 0xbab64f3b
	v_mul_f32_e32 v14, 0xcf800000, v2
	v_rcp_f32_e32 v17, v13
	v_xor_b32_e32 v1, v1, v0
	v_fma_f32 v9, -v6, v8, 1.0
	v_fmaak_f32 v15, v12, v15, 0xbe2aaa9d
	v_fmaak_f32 v16, v12, v16, 0x3d2aabf7
	v_fmac_f32_e32 v8, v9, v8
	v_mul_f32_e32 v15, v12, v15
	v_fmaak_f32 v16, v12, v16, 0xbf000004
	v_mul_f32_e32 v9, v10, v8
	v_fmac_f32_e32 v3, v3, v15
	v_fma_f32 v12, v12, v16, 1.0
	v_fma_f32 v11, -v6, v9, v10
	v_fmac_f32_e32 v9, v11, v8
	v_and_b32_e32 v11, 1, v4
	v_lshlrev_b32_e32 v4, 30, v4
	v_fma_f32 v6, -v6, v9, v10
	v_div_scale_f32 v10, s4, 0x40a00000, v2, 0x40a00000
	v_and_b32_e32 v4, 0x80000000, v4
	v_div_fmas_f32 v6, v6, v8, v9
	v_mul_f32_e32 v8, v5, v5
	v_and_b32_e32 v9, 1, v7
	v_lshlrev_b32_e32 v7, 30, v7
	v_div_fixup_f32 v6, v6, v2, 0xc0a00000
	v_fmaak_f32 v18, s5, v8, 0x3c0881c4
	v_fmaak_f32 v19, s6, v8, 0xbab64f3b
	v_cmp_lt_f32_e64 s5, 0x8f800000, v2
	v_cmp_eq_u32_e64 s6, 0, v11
	v_mul_f32_e32 v6, v6, v6
	v_fmaak_f32 v18, v8, v18, 0xbe2aaa9d
	v_fmaak_f32 v19, v8, v19, 0x3d2aabf7
	v_cndmask_b32_e64 v14, -v2, v14, s5
	v_cndmask_b32_e64 v3, -v3, v12, s6
	v_fmaak_f32 v20, 0, v6, 0x3a15c4d9
	v_fmaak_f32 v21, 0, v6, 0x3a47c962
	;; [unrolled: 1-line block ×4, first 2 shown]
	v_mul_f32_e32 v18, v8, v18
	v_fmaak_f32 v20, v6, v20, 0x3d8cfeeb
	v_fmaak_f32 v21, v6, v21, 0x3d95ca45
	;; [unrolled: 1-line block ×9, first 2 shown]
	v_fmac_f32_e32 v5, v5, v18
	v_fmaak_f32 v20, v6, v20, 0x40a25d18
	v_fmaak_f32 v21, v6, v21, 0x40a39628
	;; [unrolled: 1-line block ×4, first 2 shown]
	v_fma_f32 v8, v8, v19, 1.0
	v_fmaak_f32 v20, v6, v20, 0x410665cf
	v_fmaak_f32 v21, v6, v21, 0x4106c8e4
	;; [unrolled: 1-line block ×4, first 2 shown]
	v_cmp_eq_u32_e64 s7, 0, v9
	v_fmaak_f32 v20, v6, v20, 0x40a6b6ea
	v_fmaak_f32 v21, v6, v21, 0x40a6dd51
	;; [unrolled: 1-line block ×4, first 2 shown]
	v_sqrt_f32_e32 v24, v14
	v_fma_f32 v20, v6, v20, 1.0
	v_fma_f32 v21, v6, v21, 1.0
	v_fmaak_f32 v22, v6, v22, 0x4353b052
	v_fmaak_f32 v23, v6, v23, 0x43a80bfb
	v_cndmask_b32_e64 v5, v8, v5, s7
	v_cmp_class_f32_e64 s7, v0, 0x1f8
	v_div_scale_f32 v25, null, v20, v20, v21
	v_fmaak_f32 v6, v6, v22, 0x41c9a7fa
	v_fma_f32 v22, -v13, v17, 1.0
	v_add_nc_u32_e32 v18, -1, v24
	v_rcp_f32_e32 v26, v25
	v_xor_b32_e32 v3, v4, v3
	v_div_scale_f32 v27, null, v23, v23, v6
	v_fmac_f32_e32 v17, v22, v17
	v_div_scale_f32 v22, vcc_lo, v21, v20, v21
	v_rcp_f32_e32 v15, v27
	v_div_scale_f32 v11, s6, v6, v23, v6
	v_fma_f32 v16, -v25, v26, 1.0
	v_add_nc_u32_e32 v19, 1, v24
	v_fma_f32 v29, -v18, v24, v14
	v_and_b32_e32 v7, 0x80000000, v7
	v_cndmask_b32_e64 v3, 0x7fc00000, v3, s7
	v_fmac_f32_e32 v26, v16, v26
	v_fma_f32 v30, -v19, v24, v14
	v_fma_f32 v16, -v27, v15, 1.0
	v_xor3_b32 v1, v1, v7, v5
	v_mul_f32_e32 v12, v22, v26
	v_fmac_f32_e32 v15, v16, v15
	v_mul_f32_e32 v16, v10, v17
	v_cndmask_b32_e64 v1, 0x7fc00000, v1, s7
	v_fma_f32 v8, -v25, v12, v22
	v_mul_f32_e32 v9, v11, v15
	v_fma_f32 v28, -v13, v16, v10
	v_fmac_f32_e32 v12, v8, v26
	v_fma_f32 v8, -v27, v9, v11
	v_fmac_f32_e32 v16, v28, v17
	;; [unrolled: 2-line block ×3, first 2 shown]
	v_fma_f32 v4, -v13, v16, v10
	v_div_fmas_f32 v0, v0, v26, v12
	s_mov_b32 vcc_lo, s4
	v_fma_f32 v8, -v27, v9, v11
	v_div_fmas_f32 v4, v4, v17, v16
	s_mov_b32 vcc_lo, s6
	v_div_fixup_f32 v0, v0, v20, v21
	v_div_fmas_f32 v8, v8, v15, v9
	v_cmp_ge_f32_e32 vcc_lo, 0, v29
	v_div_fixup_f32 v2, v4, v2, 0x40a00000
	v_div_fixup_f32 v4, v8, v23, v6
	v_cndmask_b32_e32 v5, v24, v18, vcc_lo
	v_cmp_lt_f32_e32 vcc_lo, 0, v30
	v_mul_f32_e32 v2, v2, v4
	v_cndmask_b32_e32 v5, v5, v19, vcc_lo
	v_cmp_class_f32_e64 vcc_lo, v14, 0x260
	v_mul_f32_e32 v1, v2, v1
	v_mul_f32_e32 v4, 0x37800000, v5
	v_fmac_f32_e32 v1, v0, v3
	v_cndmask_b32_e64 v2, v5, v4, s5
	v_mul_f32_e32 v1, 0x3f4c422a, v1
	v_cndmask_b32_e32 v0, v2, v14, vcc_lo
	v_div_scale_f32 v2, null, v0, v0, v1
	v_rcp_f32_e32 v3, v2
	v_fma_f32 v4, -v2, v3, 1.0
	v_fmac_f32_e32 v3, v4, v3
	v_div_scale_f32 v4, vcc_lo, v1, v0, v1
	v_mul_f32_e32 v5, v4, v3
	v_fma_f32 v6, -v2, v5, v4
	v_fmac_f32_e32 v5, v6, v3
	v_fma_f32 v2, -v2, v5, v4
	v_div_fmas_f32 v2, v2, v3, v5
	v_div_fixup_f32 v0, v2, v0, v1
.LBB19_137:
	s_or_b32 exec_lo, exec_lo, s10
	v_xor_b32_e32 v0, 0x80000000, v0
.LBB19_138:
	s_or_b32 exec_lo, exec_lo, s9
	s_or_b32 exec_lo, exec_lo, s8
	s_setpc_b64 s[30:31]
.LBB19_139:
	s_or_saveexec_b32 s12, s12
	v_mov_b32_e32 v2, 0x7f800001
	s_xor_b32 exec_lo, exec_lo, s12
	s_cbranch_execz .LBB19_30
.LBB19_140:
	v_cmp_ne_u16_e32 vcc_lo, 0, v3
	v_mov_b32_e32 v2, 0
	s_andn2_b32 s11, s11, exec_lo
	s_and_b32 s13, vcc_lo, exec_lo
	s_or_b32 s11, s11, s13
	s_or_b32 exec_lo, exec_lo, s12
	s_and_saveexec_b32 s12, s11
	s_cbranch_execnz .LBB19_31
	s_branch .LBB19_32
.LBB19_141:
	s_or_saveexec_b32 s12, s12
	v_mov_b32_e32 v2, 0x7f800001
	s_xor_b32 exec_lo, exec_lo, s12
	s_cbranch_execz .LBB19_97
.LBB19_142:
	v_cmp_ne_u16_e32 vcc_lo, 0, v3
	v_mov_b32_e32 v2, 0
	s_andn2_b32 s11, s11, exec_lo
	s_and_b32 s13, vcc_lo, exec_lo
	s_or_b32 s11, s11, s13
	s_or_b32 exec_lo, exec_lo, s12
	s_and_saveexec_b32 s12, s11
	s_cbranch_execnz .LBB19_98
	s_branch .LBB19_99
.Lfunc_end19:
	.size	_ZN2at6native6invokeIZZZNS0_12_GLOBAL__N_121bessel_j1_kernel_cudaERNS_18TensorIteratorBaseEENKUlvE_clEvENKUlvE0_clEvEUlfE_j15function_traitsIS7_EEENT1_11result_typeERKT_PrKPcPKT0_PKN3c1010ScalarTypeEi, .Lfunc_end19-_ZN2at6native6invokeIZZZNS0_12_GLOBAL__N_121bessel_j1_kernel_cudaERNS_18TensorIteratorBaseEENKUlvE_clEvENKUlvE0_clEvEUlfE_j15function_traitsIS7_EEENT1_11result_typeERKT_PrKPcPKT0_PKN3c1010ScalarTypeEi
                                        ; -- End function
	.set .L_ZN2at6native6invokeIZZZNS0_12_GLOBAL__N_121bessel_j1_kernel_cudaERNS_18TensorIteratorBaseEENKUlvE_clEvENKUlvE0_clEvEUlfE_j15function_traitsIS7_EEENT1_11result_typeERKT_PrKPcPKT0_PKN3c1010ScalarTypeEi.num_vgpr, 31
	.set .L_ZN2at6native6invokeIZZZNS0_12_GLOBAL__N_121bessel_j1_kernel_cudaERNS_18TensorIteratorBaseEENKUlvE_clEvENKUlvE0_clEvEUlfE_j15function_traitsIS7_EEENT1_11result_typeERKT_PrKPcPKT0_PKN3c1010ScalarTypeEi.num_agpr, 0
	.set .L_ZN2at6native6invokeIZZZNS0_12_GLOBAL__N_121bessel_j1_kernel_cudaERNS_18TensorIteratorBaseEENKUlvE_clEvENKUlvE0_clEvEUlfE_j15function_traitsIS7_EEENT1_11result_typeERKT_PrKPcPKT0_PKN3c1010ScalarTypeEi.numbered_sgpr, 32
	.set .L_ZN2at6native6invokeIZZZNS0_12_GLOBAL__N_121bessel_j1_kernel_cudaERNS_18TensorIteratorBaseEENKUlvE_clEvENKUlvE0_clEvEUlfE_j15function_traitsIS7_EEENT1_11result_typeERKT_PrKPcPKT0_PKN3c1010ScalarTypeEi.num_named_barrier, 0
	.set .L_ZN2at6native6invokeIZZZNS0_12_GLOBAL__N_121bessel_j1_kernel_cudaERNS_18TensorIteratorBaseEENKUlvE_clEvENKUlvE0_clEvEUlfE_j15function_traitsIS7_EEENT1_11result_typeERKT_PrKPcPKT0_PKN3c1010ScalarTypeEi.private_seg_size, 0
	.set .L_ZN2at6native6invokeIZZZNS0_12_GLOBAL__N_121bessel_j1_kernel_cudaERNS_18TensorIteratorBaseEENKUlvE_clEvENKUlvE0_clEvEUlfE_j15function_traitsIS7_EEENT1_11result_typeERKT_PrKPcPKT0_PKN3c1010ScalarTypeEi.uses_vcc, 1
	.set .L_ZN2at6native6invokeIZZZNS0_12_GLOBAL__N_121bessel_j1_kernel_cudaERNS_18TensorIteratorBaseEENKUlvE_clEvENKUlvE0_clEvEUlfE_j15function_traitsIS7_EEENT1_11result_typeERKT_PrKPcPKT0_PKN3c1010ScalarTypeEi.uses_flat_scratch, 0
	.set .L_ZN2at6native6invokeIZZZNS0_12_GLOBAL__N_121bessel_j1_kernel_cudaERNS_18TensorIteratorBaseEENKUlvE_clEvENKUlvE0_clEvEUlfE_j15function_traitsIS7_EEENT1_11result_typeERKT_PrKPcPKT0_PKN3c1010ScalarTypeEi.has_dyn_sized_stack, 0
	.set .L_ZN2at6native6invokeIZZZNS0_12_GLOBAL__N_121bessel_j1_kernel_cudaERNS_18TensorIteratorBaseEENKUlvE_clEvENKUlvE0_clEvEUlfE_j15function_traitsIS7_EEENT1_11result_typeERKT_PrKPcPKT0_PKN3c1010ScalarTypeEi.has_recursion, 0
	.set .L_ZN2at6native6invokeIZZZNS0_12_GLOBAL__N_121bessel_j1_kernel_cudaERNS_18TensorIteratorBaseEENKUlvE_clEvENKUlvE0_clEvEUlfE_j15function_traitsIS7_EEENT1_11result_typeERKT_PrKPcPKT0_PKN3c1010ScalarTypeEi.has_indirect_call, 0
	.section	.AMDGPU.csdata,"",@progbits
; Function info:
; codeLenInByte = 7460
; TotalNumSgprs: 34
; NumVgprs: 31
; ScratchSize: 0
; MemoryBound: 1
	.section	.text._ZN2at6native32elementwise_kernel_manual_unrollILi128ELi4EZNS0_15gpu_kernel_implIZZZNS0_12_GLOBAL__N_121bessel_j1_kernel_cudaERNS_18TensorIteratorBaseEENKUlvE_clEvENKUlvE0_clEvEUlfE_EEvS5_RKT_EUlibE0_EEviT1_,"axG",@progbits,_ZN2at6native32elementwise_kernel_manual_unrollILi128ELi4EZNS0_15gpu_kernel_implIZZZNS0_12_GLOBAL__N_121bessel_j1_kernel_cudaERNS_18TensorIteratorBaseEENKUlvE_clEvENKUlvE0_clEvEUlfE_EEvS5_RKT_EUlibE0_EEviT1_,comdat
	.globl	_ZN2at6native32elementwise_kernel_manual_unrollILi128ELi4EZNS0_15gpu_kernel_implIZZZNS0_12_GLOBAL__N_121bessel_j1_kernel_cudaERNS_18TensorIteratorBaseEENKUlvE_clEvENKUlvE0_clEvEUlfE_EEvS5_RKT_EUlibE0_EEviT1_ ; -- Begin function _ZN2at6native32elementwise_kernel_manual_unrollILi128ELi4EZNS0_15gpu_kernel_implIZZZNS0_12_GLOBAL__N_121bessel_j1_kernel_cudaERNS_18TensorIteratorBaseEENKUlvE_clEvENKUlvE0_clEvEUlfE_EEvS5_RKT_EUlibE0_EEviT1_
	.p2align	8
	.type	_ZN2at6native32elementwise_kernel_manual_unrollILi128ELi4EZNS0_15gpu_kernel_implIZZZNS0_12_GLOBAL__N_121bessel_j1_kernel_cudaERNS_18TensorIteratorBaseEENKUlvE_clEvENKUlvE0_clEvEUlfE_EEvS5_RKT_EUlibE0_EEviT1_,@function
_ZN2at6native32elementwise_kernel_manual_unrollILi128ELi4EZNS0_15gpu_kernel_implIZZZNS0_12_GLOBAL__N_121bessel_j1_kernel_cudaERNS_18TensorIteratorBaseEENKUlvE_clEvENKUlvE0_clEvEUlfE_EEvS5_RKT_EUlibE0_EEviT1_: ; @_ZN2at6native32elementwise_kernel_manual_unrollILi128ELi4EZNS0_15gpu_kernel_implIZZZNS0_12_GLOBAL__N_121bessel_j1_kernel_cudaERNS_18TensorIteratorBaseEENKUlvE_clEvENKUlvE0_clEvEUlfE_EEvS5_RKT_EUlibE0_EEviT1_
; %bb.0:
	s_clause 0x1
	s_load_dword s33, s[4:5], 0x8
	s_load_dword s46, s[4:5], 0x0
	v_lshl_or_b32 v34, s6, 9, v0
	s_add_u32 s0, s0, s7
	s_mov_b64 s[16:17], s[4:5]
	s_addc_u32 s1, s1, 0
	s_add_u32 s18, s16, 8
	s_addc_u32 s19, s17, 0
	v_or_b32_e32 v1, 0x180, v34
	s_mov_b32 s4, -1
	s_mov_b32 s41, 0
	s_mov_b32 s20, 0
	;; [unrolled: 1-line block ×3, first 2 shown]
	s_mov_b32 s5, exec_lo
	s_waitcnt lgkmcnt(0)
	s_add_i32 s40, s33, -1
	s_cmp_gt_u32 s40, 1
	s_cselect_b32 s42, -1, 0
	v_cmpx_le_i32_e64 s46, v1
	s_xor_b32 s43, exec_lo, s5
	s_cbranch_execz .LBB20_570
; %bb.1:
	v_mov_b32_e32 v0, 0
	s_clause 0x3
	s_load_dwordx4 s[36:39], s[18:19], 0x4
	s_load_dwordx2 s[28:29], s[18:19], 0x14
	s_load_dwordx4 s[24:27], s[18:19], 0xc4
	s_load_dwordx4 s[20:23], s[18:19], 0x148
	v_mov_b32_e32 v1, 8
	s_cmp_lg_u32 s33, 0
	s_mov_b32 s51, 0
	global_load_ushort v0, v0, s[18:19] offset:345
	s_cselect_b32 s48, -1, 0
	s_add_u32 s34, s18, 0xc4
	s_addc_u32 s35, s19, 0
	s_min_u32 s47, s40, 15
	s_cmp_gt_u32 s33, 1
	s_mov_b32 s49, 0
	s_cselect_b32 s45, -1, 0
	s_mov_b32 s50, exec_lo
	s_waitcnt vmcnt(0)
	v_readfirstlane_b32 s44, v0
	v_lshrrev_b32_sdwa v31, v1, v0 dst_sel:DWORD dst_unused:UNUSED_PAD src0_sel:DWORD src1_sel:WORD_0
	v_cmpx_gt_i32_e64 s46, v34
	s_cbranch_execz .LBB20_138
; %bb.2:
	s_andn2_b32 vcc_lo, exec_lo, s42
	s_cbranch_vccnz .LBB20_7
; %bb.3:
	s_andn2_b32 vcc_lo, exec_lo, s48
	s_cbranch_vccnz .LBB20_8
; %bb.4:
	s_add_i32 s9, s47, 1
	s_cmp_eq_u32 s40, 2
	s_cbranch_scc1 .LBB20_9
; %bb.5:
	v_mov_b32_e32 v2, 0
	v_mov_b32_e32 v32, 0
	;; [unrolled: 1-line block ×3, first 2 shown]
	s_and_b32 s8, s9, 28
	s_mov_b32 s10, 0
	s_mov_b64 s[4:5], s[18:19]
	s_mov_b64 s[6:7], s[34:35]
.LBB20_6:                               ; =>This Inner Loop Header: Depth=1
	s_clause 0x1
	s_load_dwordx8 s[52:59], s[4:5], 0x4
	s_load_dwordx4 s[12:15], s[4:5], 0x24
	s_load_dwordx8 s[60:67], s[6:7], 0x0
	s_add_u32 s4, s4, 48
	s_addc_u32 s5, s5, 0
	s_add_i32 s10, s10, 4
	s_add_u32 s6, s6, 32
	s_addc_u32 s7, s7, 0
	s_cmp_lg_u32 s8, s10
	s_waitcnt lgkmcnt(0)
	v_mul_hi_u32 v1, s53, v0
	v_add_nc_u32_e32 v1, v0, v1
	v_lshrrev_b32_e32 v1, s54, v1
	v_mul_hi_u32 v3, s56, v1
	v_mul_lo_u32 v5, v1, s52
	v_add_nc_u32_e32 v3, v1, v3
	v_sub_nc_u32_e32 v0, v0, v5
	v_lshrrev_b32_e32 v3, s57, v3
	v_mul_lo_u32 v5, v0, s60
	v_mul_lo_u32 v7, v0, s61
	v_mul_hi_u32 v4, s59, v3
	v_add_nc_u32_e32 v4, v3, v4
	v_lshrrev_b32_e32 v4, s12, v4
	v_mul_hi_u32 v6, s14, v4
	v_mul_lo_u32 v8, v4, s58
	v_add_nc_u32_e32 v0, v4, v6
	v_mul_lo_u32 v6, v3, s55
	v_sub_nc_u32_e32 v3, v3, v8
	v_lshrrev_b32_e32 v0, s15, v0
	v_mul_lo_u32 v8, v3, s64
	v_mul_lo_u32 v3, v3, s65
	v_sub_nc_u32_e32 v1, v1, v6
	v_mul_lo_u32 v9, v0, s13
	v_mul_lo_u32 v6, v1, s62
	v_mul_lo_u32 v1, v1, s63
	v_sub_nc_u32_e32 v4, v4, v9
	v_add3_u32 v5, v5, v32, v6
	v_mul_lo_u32 v9, v4, s66
	v_mul_lo_u32 v4, v4, s67
	v_add3_u32 v1, v7, v2, v1
	v_add3_u32 v32, v8, v5, v9
	;; [unrolled: 1-line block ×3, first 2 shown]
	s_cbranch_scc1 .LBB20_6
	s_branch .LBB20_10
.LBB20_7:
                                        ; implicit-def: $vgpr32
                                        ; implicit-def: $vgpr2
	s_andn2_b32 vcc_lo, exec_lo, s4
	s_cbranch_vccz .LBB20_14
	s_branch .LBB20_16
.LBB20_8:
	v_mov_b32_e32 v32, 0
	v_mov_b32_e32 v2, 0
	s_branch .LBB20_13
.LBB20_9:
	v_mov_b32_e32 v32, 0
	v_mov_b32_e32 v2, 0
	;; [unrolled: 1-line block ×3, first 2 shown]
	s_mov_b32 s8, 0
.LBB20_10:
	s_and_b32 s9, s9, 3
	s_cmp_eq_u32 s9, 0
	s_cbranch_scc1 .LBB20_13
; %bb.11:
	s_lshl_b32 s4, s8, 3
	s_mul_i32 s6, s8, 12
	s_add_u32 s4, s18, s4
	s_addc_u32 s5, s19, 0
	s_add_u32 s4, s4, 0xc4
	s_addc_u32 s5, s5, 0
	;; [unrolled: 2-line block ×3, first 2 shown]
	.p2align	6
.LBB20_12:                              ; =>This Inner Loop Header: Depth=1
	s_clause 0x1
	s_load_dwordx2 s[10:11], s[6:7], 0x4
	s_load_dword s8, s[6:7], 0xc
	s_load_dwordx2 s[12:13], s[4:5], 0x0
	s_add_u32 s6, s6, 12
	s_addc_u32 s7, s7, 0
	s_add_u32 s4, s4, 8
	s_addc_u32 s5, s5, 0
	s_add_i32 s9, s9, -1
	s_cmp_lg_u32 s9, 0
	s_waitcnt lgkmcnt(0)
	v_mul_hi_u32 v1, s11, v0
	v_add_nc_u32_e32 v1, v0, v1
	v_lshrrev_b32_e32 v1, s8, v1
	v_mul_lo_u32 v3, v1, s10
	v_sub_nc_u32_e32 v0, v0, v3
	v_mad_u64_u32 v[32:33], null, v0, s12, v[32:33]
	v_mad_u64_u32 v[2:3], null, v0, s13, v[2:3]
	v_mov_b32_e32 v0, v1
	s_cbranch_scc1 .LBB20_12
.LBB20_13:
	s_cbranch_execnz .LBB20_16
.LBB20_14:
	s_waitcnt lgkmcnt(0)
	v_mul_hi_u32 v0, s37, v34
	s_andn2_b32 vcc_lo, exec_lo, s45
	v_add_nc_u32_e32 v0, v34, v0
	v_lshrrev_b32_e32 v0, s38, v0
	v_mul_lo_u32 v1, v0, s36
	v_sub_nc_u32_e32 v1, v34, v1
	v_mul_lo_u32 v32, v1, s24
	v_mul_lo_u32 v2, v1, s25
	s_cbranch_vccnz .LBB20_16
; %bb.15:
	v_mul_hi_u32 v1, s28, v0
	v_add_nc_u32_e32 v1, v0, v1
	v_lshrrev_b32_e32 v1, s29, v1
	v_mul_lo_u32 v1, v1, s39
	v_sub_nc_u32_e32 v0, v0, v1
	v_mad_u64_u32 v[32:33], null, v0, s26, v[32:33]
	v_mad_u64_u32 v[2:3], null, v0, s27, v[2:3]
.LBB20_16:
	s_waitcnt lgkmcnt(0)
	v_mov_b32_e32 v0, s22
	v_mov_b32_e32 v1, s23
	;; [unrolled: 1-line block ×3, first 2 shown]
	s_getpc_b64 s[4:5]
	s_add_u32 s4, s4, _ZN2at6native6invokeIZZZNS0_12_GLOBAL__N_121bessel_j1_kernel_cudaERNS_18TensorIteratorBaseEENKUlvE_clEvENKUlvE0_clEvEUlfE_j15function_traitsIS7_EEENT1_11result_typeERKT_PrKPcPKT0_PKN3c1010ScalarTypeEi@rel32@lo+4
	s_addc_u32 s5, s5, _ZN2at6native6invokeIZZZNS0_12_GLOBAL__N_121bessel_j1_kernel_cudaERNS_18TensorIteratorBaseEENKUlvE_clEvENKUlvE0_clEvEUlfE_j15function_traitsIS7_EEENT1_11result_typeERKT_PrKPcPKT0_PKN3c1010ScalarTypeEi@rel32@hi+12
	s_swappc_b64 s[30:31], s[4:5]
	v_add_co_u32 v2, s4, s20, v32
	v_add_co_ci_u32_e64 v3, null, s21, 0, s4
	s_and_b32 s5, s44, 0xff
	s_cmp_lt_i32 s5, 11
	s_cbranch_scc1 .LBB20_23
; %bb.17:
	s_and_b32 s6, 0xffff, s5
	s_cmp_gt_i32 s6, 25
	s_cbranch_scc0 .LBB20_26
; %bb.18:
	s_cmp_gt_i32 s6, 28
	s_cbranch_scc0 .LBB20_27
; %bb.19:
	;; [unrolled: 3-line block ×4, first 2 shown]
	s_mov_b32 s8, 0
	s_mov_b32 s4, -1
	s_cmp_eq_u32 s6, 46
	s_mov_b32 s7, 0
	s_cbranch_scc0 .LBB20_30
; %bb.22:
	v_bfe_u32 v1, v0, 16, 1
	v_cmp_o_f32_e32 vcc_lo, v0, v0
	v_mov_b32_e32 v4, 0x7fc0
	s_mov_b32 s7, -1
	s_mov_b32 s4, 0
	v_add3_u32 v1, v0, v1, 0x7fff
	v_cndmask_b32_sdwa v1, v4, v1, vcc_lo dst_sel:DWORD dst_unused:UNUSED_PAD src0_sel:DWORD src1_sel:WORD_1
	global_store_dword v[2:3], v1, off
	s_branch .LBB20_30
.LBB20_23:
	s_mov_b32 s4, 0
	s_mov_b32 s7, 0
	s_cbranch_execnz .LBB20_98
.LBB20_24:
	s_andn2_b32 vcc_lo, exec_lo, s7
	s_cbranch_vccnz .LBB20_136
.LBB20_25:
	v_add_nc_u32_e32 v34, 0x80, v34
	s_mov_b32 s5, -1
	s_branch .LBB20_137
.LBB20_26:
	s_mov_b32 s4, 0
	s_mov_b32 s7, 0
	s_cbranch_execnz .LBB20_57
	s_branch .LBB20_97
.LBB20_27:
	s_mov_b32 s8, -1
	s_mov_b32 s4, 0
	s_mov_b32 s7, 0
	s_branch .LBB20_40
.LBB20_28:
	s_mov_b32 s8, -1
	s_mov_b32 s4, 0
	s_mov_b32 s7, 0
	s_branch .LBB20_36
.LBB20_29:
	s_mov_b32 s8, -1
	s_mov_b32 s4, 0
	s_mov_b32 s7, 0
.LBB20_30:
	s_and_b32 vcc_lo, exec_lo, s8
	s_cbranch_vccz .LBB20_35
; %bb.31:
	s_cmp_eq_u32 s6, 44
	s_mov_b32 s4, -1
	s_cbranch_scc0 .LBB20_35
; %bb.32:
	v_bfe_u32 v4, v0, 23, 8
	v_mov_b32_e32 v1, 0xff
	s_mov_b32 s7, exec_lo
	v_cmpx_ne_u32_e32 0xff, v4
	s_cbranch_execz .LBB20_34
; %bb.33:
	v_and_b32_e32 v1, 0x400000, v0
	v_and_or_b32 v4, 0x3fffff, v0, v4
	v_cmp_ne_u32_e32 vcc_lo, 0, v1
	v_cmp_ne_u32_e64 s4, 0, v4
	v_lshrrev_b32_e32 v1, 23, v0
	s_and_b32 s4, vcc_lo, s4
	v_cndmask_b32_e64 v4, 0, 1, s4
	v_add_nc_u32_e32 v1, v1, v4
.LBB20_34:
	s_or_b32 exec_lo, exec_lo, s7
	s_mov_b32 s7, -1
	s_mov_b32 s4, 0
	global_store_byte v[2:3], v1, off
.LBB20_35:
	s_mov_b32 s8, 0
.LBB20_36:
	s_and_b32 vcc_lo, exec_lo, s8
	s_cbranch_vccz .LBB20_39
; %bb.37:
	s_cmp_eq_u32 s6, 29
	s_mov_b32 s4, -1
	s_cbranch_scc0 .LBB20_39
; %bb.38:
	v_trunc_f32_e32 v1, v0
	s_mov_b32 s7, -1
	s_mov_b32 s4, 0
	s_mov_b32 s8, 0
	v_mul_f32_e32 v4, 0x2f800000, v1
	v_floor_f32_e32 v4, v4
	v_fmamk_f32 v1, v4, 0xcf800000, v1
	v_cvt_u32_f32_e32 v5, v4
	v_cvt_u32_f32_e32 v4, v1
	global_store_dwordx2 v[2:3], v[4:5], off
	s_branch .LBB20_40
.LBB20_39:
	s_mov_b32 s8, 0
.LBB20_40:
	s_and_b32 vcc_lo, exec_lo, s8
	s_cbranch_vccz .LBB20_56
; %bb.41:
	s_cmp_lt_i32 s6, 27
	s_mov_b32 s7, -1
	s_cbranch_scc1 .LBB20_47
; %bb.42:
	s_cmp_gt_i32 s6, 27
	s_cbranch_scc0 .LBB20_44
; %bb.43:
	v_cvt_u32_f32_e32 v1, v0
	s_mov_b32 s7, 0
	global_store_dword v[2:3], v1, off
.LBB20_44:
	s_andn2_b32 vcc_lo, exec_lo, s7
	s_cbranch_vccnz .LBB20_46
; %bb.45:
	v_cvt_u32_f32_e32 v1, v0
	global_store_short v[2:3], v1, off
.LBB20_46:
	s_mov_b32 s7, 0
.LBB20_47:
	s_andn2_b32 vcc_lo, exec_lo, s7
	s_cbranch_vccnz .LBB20_55
; %bb.48:
	v_and_b32_e32 v1, 0x7fffffff, v0
	v_mov_b32_e32 v4, 0x80
	s_mov_b32 s7, exec_lo
	v_cmpx_gt_u32_e32 0x43800000, v1
	s_cbranch_execz .LBB20_54
; %bb.49:
	v_cmp_lt_u32_e32 vcc_lo, 0x3bffffff, v1
	s_mov_b32 s8, 0
                                        ; implicit-def: $vgpr1
	s_and_saveexec_b32 s9, vcc_lo
	s_xor_b32 s9, exec_lo, s9
	s_cbranch_execz .LBB20_169
; %bb.50:
	v_bfe_u32 v1, v0, 20, 1
	s_mov_b32 s8, exec_lo
	v_add3_u32 v1, v0, v1, 0x487ffff
	v_lshrrev_b32_e32 v1, 20, v1
	s_andn2_saveexec_b32 s9, s9
	s_cbranch_execnz .LBB20_170
.LBB20_51:
	s_or_b32 exec_lo, exec_lo, s9
	v_mov_b32_e32 v4, 0
	s_and_saveexec_b32 s9, s8
.LBB20_52:
	v_lshrrev_b32_e32 v4, 24, v0
	v_and_or_b32 v4, 0x80, v4, v1
.LBB20_53:
	s_or_b32 exec_lo, exec_lo, s9
.LBB20_54:
	s_or_b32 exec_lo, exec_lo, s7
	global_store_byte v[2:3], v4, off
.LBB20_55:
	s_mov_b32 s7, -1
.LBB20_56:
	s_branch .LBB20_97
.LBB20_57:
	s_cmp_gt_i32 s6, 22
	s_mov_b32 s8, -1
	s_cbranch_scc0 .LBB20_89
; %bb.58:
	s_cmp_lt_i32 s6, 24
	s_mov_b32 s7, -1
	s_cbranch_scc1 .LBB20_78
; %bb.59:
	s_cmp_gt_i32 s6, 24
	s_cbranch_scc0 .LBB20_67
; %bb.60:
	v_and_b32_e32 v1, 0x7fffffff, v0
	v_mov_b32_e32 v4, 0x80
	s_mov_b32 s7, exec_lo
	v_cmpx_gt_u32_e32 0x47800000, v1
	s_cbranch_execz .LBB20_66
; %bb.61:
	v_cmp_lt_u32_e32 vcc_lo, 0x37ffffff, v1
	s_mov_b32 s8, 0
                                        ; implicit-def: $vgpr1
	s_and_saveexec_b32 s9, vcc_lo
	s_xor_b32 s9, exec_lo, s9
	s_cbranch_execz .LBB20_172
; %bb.62:
	v_bfe_u32 v1, v0, 21, 1
	s_mov_b32 s8, exec_lo
	v_add3_u32 v1, v0, v1, 0x88fffff
	v_lshrrev_b32_e32 v1, 21, v1
	s_andn2_saveexec_b32 s9, s9
	s_cbranch_execnz .LBB20_173
.LBB20_63:
	s_or_b32 exec_lo, exec_lo, s9
	v_mov_b32_e32 v4, 0
	s_and_saveexec_b32 s9, s8
.LBB20_64:
	v_lshrrev_b32_e32 v4, 24, v0
	v_and_or_b32 v4, 0x80, v4, v1
.LBB20_65:
	s_or_b32 exec_lo, exec_lo, s9
.LBB20_66:
	s_or_b32 exec_lo, exec_lo, s7
	s_mov_b32 s7, 0
	global_store_byte v[2:3], v4, off
.LBB20_67:
	s_and_b32 vcc_lo, exec_lo, s7
	s_cbranch_vccz .LBB20_77
; %bb.68:
	v_and_b32_e32 v4, 0x7fffffff, v0
	s_mov_b32 s7, exec_lo
                                        ; implicit-def: $vgpr1
	v_cmpx_gt_u32_e32 0x43f00000, v4
	s_xor_b32 s7, exec_lo, s7
	s_cbranch_execz .LBB20_74
; %bb.69:
	s_mov_b32 s8, exec_lo
                                        ; implicit-def: $vgpr1
	v_cmpx_lt_u32_e32 0x3c7fffff, v4
	s_xor_b32 s8, exec_lo, s8
; %bb.70:
	v_bfe_u32 v1, v0, 20, 1
	v_add3_u32 v1, v0, v1, 0x407ffff
	v_and_b32_e32 v4, 0xff00000, v1
	v_lshrrev_b32_e32 v1, 20, v1
	v_cmp_ne_u32_e32 vcc_lo, 0x7f00000, v4
	v_cndmask_b32_e32 v1, 0x7e, v1, vcc_lo
; %bb.71:
	s_andn2_saveexec_b32 s8, s8
; %bb.72:
	v_add_f32_e64 v1, 0x46800000, |v0|
; %bb.73:
	s_or_b32 exec_lo, exec_lo, s8
                                        ; implicit-def: $vgpr4
.LBB20_74:
	s_andn2_saveexec_b32 s7, s7
; %bb.75:
	v_mov_b32_e32 v1, 0x7f
	v_cmp_lt_u32_e32 vcc_lo, 0x7f800000, v4
	v_cndmask_b32_e32 v1, 0x7e, v1, vcc_lo
; %bb.76:
	s_or_b32 exec_lo, exec_lo, s7
	v_lshrrev_b32_e32 v4, 24, v0
	v_and_or_b32 v1, 0x80, v4, v1
	global_store_byte v[2:3], v1, off
.LBB20_77:
	s_mov_b32 s7, 0
.LBB20_78:
	s_andn2_b32 vcc_lo, exec_lo, s7
	s_cbranch_vccnz .LBB20_88
; %bb.79:
	v_and_b32_e32 v4, 0x7fffffff, v0
	s_mov_b32 s7, exec_lo
                                        ; implicit-def: $vgpr1
	v_cmpx_gt_u32_e32 0x47800000, v4
	s_xor_b32 s7, exec_lo, s7
	s_cbranch_execz .LBB20_85
; %bb.80:
	s_mov_b32 s8, exec_lo
                                        ; implicit-def: $vgpr1
	v_cmpx_lt_u32_e32 0x387fffff, v4
	s_xor_b32 s8, exec_lo, s8
; %bb.81:
	v_bfe_u32 v1, v0, 21, 1
	v_add3_u32 v1, v0, v1, 0x80fffff
	v_lshrrev_b32_e32 v1, 21, v1
; %bb.82:
	s_andn2_saveexec_b32 s8, s8
; %bb.83:
	v_add_f32_e64 v1, 0x43000000, |v0|
; %bb.84:
	s_or_b32 exec_lo, exec_lo, s8
                                        ; implicit-def: $vgpr4
.LBB20_85:
	s_andn2_saveexec_b32 s7, s7
; %bb.86:
	v_mov_b32_e32 v1, 0x7f
	v_cmp_lt_u32_e32 vcc_lo, 0x7f800000, v4
	v_cndmask_b32_e32 v1, 0x7c, v1, vcc_lo
; %bb.87:
	s_or_b32 exec_lo, exec_lo, s7
	v_lshrrev_b32_e32 v4, 24, v0
	v_and_or_b32 v1, 0x80, v4, v1
	global_store_byte v[2:3], v1, off
.LBB20_88:
	s_mov_b32 s8, 0
	s_mov_b32 s7, -1
.LBB20_89:
	s_andn2_b32 vcc_lo, exec_lo, s8
	s_cbranch_vccnz .LBB20_97
; %bb.90:
	s_cmp_gt_i32 s6, 14
	s_mov_b32 s8, -1
	s_cbranch_scc0 .LBB20_94
; %bb.91:
	s_cmp_eq_u32 s6, 15
	s_mov_b32 s4, -1
	s_cbranch_scc0 .LBB20_93
; %bb.92:
	v_bfe_u32 v1, v0, 16, 1
	v_cmp_o_f32_e32 vcc_lo, v0, v0
	v_mov_b32_e32 v4, 0x7fc0
	s_mov_b32 s7, -1
	s_mov_b32 s4, 0
	v_add3_u32 v1, v0, v1, 0x7fff
	v_cndmask_b32_sdwa v1, v4, v1, vcc_lo dst_sel:DWORD dst_unused:UNUSED_PAD src0_sel:DWORD src1_sel:WORD_1
	global_store_short v[2:3], v1, off
.LBB20_93:
	s_mov_b32 s8, 0
.LBB20_94:
	s_and_b32 vcc_lo, exec_lo, s8
	s_cbranch_vccz .LBB20_97
; %bb.95:
	s_cmp_eq_u32 s6, 11
	s_mov_b32 s4, -1
	s_cbranch_scc0 .LBB20_97
; %bb.96:
	v_cmp_neq_f32_e32 vcc_lo, 0, v0
	s_mov_b32 s4, 0
	s_mov_b32 s7, -1
	v_cndmask_b32_e64 v1, 0, 1, vcc_lo
	global_store_byte v[2:3], v1, off
.LBB20_97:
	s_branch .LBB20_24
.LBB20_98:
	s_and_b32 s5, 0xffff, s5
	s_mov_b32 s6, -1
	s_cmp_lt_i32 s5, 5
	s_cbranch_scc1 .LBB20_119
; %bb.99:
	s_cmp_lt_i32 s5, 8
	s_cbranch_scc1 .LBB20_109
; %bb.100:
	;; [unrolled: 3-line block ×3, first 2 shown]
	s_cmp_gt_i32 s5, 9
	s_cbranch_scc0 .LBB20_103
; %bb.102:
	v_cvt_f64_f32_e32 v[4:5], v0
	v_mov_b32_e32 v6, 0
	s_mov_b32 s6, 0
	v_mov_b32_e32 v7, v6
	global_store_dwordx4 v[2:3], v[4:7], off
.LBB20_103:
	s_andn2_b32 vcc_lo, exec_lo, s6
	s_cbranch_vccnz .LBB20_105
; %bb.104:
	v_mov_b32_e32 v1, 0
	global_store_dwordx2 v[2:3], v[0:1], off
.LBB20_105:
	s_mov_b32 s6, 0
.LBB20_106:
	s_andn2_b32 vcc_lo, exec_lo, s6
	s_cbranch_vccnz .LBB20_108
; %bb.107:
	v_cvt_f16_f32_e32 v1, v0
	v_and_b32_e32 v1, 0xffff, v1
	global_store_dword v[2:3], v1, off
.LBB20_108:
	s_mov_b32 s6, 0
.LBB20_109:
	s_andn2_b32 vcc_lo, exec_lo, s6
	s_cbranch_vccnz .LBB20_118
; %bb.110:
	s_cmp_lt_i32 s5, 6
	s_mov_b32 s6, -1
	s_cbranch_scc1 .LBB20_116
; %bb.111:
	s_cmp_gt_i32 s5, 6
	s_cbranch_scc0 .LBB20_113
; %bb.112:
	v_cvt_f64_f32_e32 v[4:5], v0
	s_mov_b32 s6, 0
	global_store_dwordx2 v[2:3], v[4:5], off
.LBB20_113:
	s_andn2_b32 vcc_lo, exec_lo, s6
	s_cbranch_vccnz .LBB20_115
; %bb.114:
	global_store_dword v[2:3], v0, off
.LBB20_115:
	s_mov_b32 s6, 0
.LBB20_116:
	s_andn2_b32 vcc_lo, exec_lo, s6
	s_cbranch_vccnz .LBB20_118
; %bb.117:
	v_cvt_f16_f32_e32 v1, v0
	global_store_short v[2:3], v1, off
.LBB20_118:
	s_mov_b32 s6, 0
.LBB20_119:
	s_andn2_b32 vcc_lo, exec_lo, s6
	s_cbranch_vccnz .LBB20_135
; %bb.120:
	s_cmp_lt_i32 s5, 2
	s_mov_b32 s6, -1
	s_cbranch_scc1 .LBB20_130
; %bb.121:
	s_cmp_lt_i32 s5, 3
	s_cbranch_scc1 .LBB20_127
; %bb.122:
	s_cmp_gt_i32 s5, 3
	s_cbranch_scc0 .LBB20_124
; %bb.123:
	v_trunc_f32_e32 v1, v0
	s_mov_b32 s6, 0
	v_mul_f32_e64 v4, 0x2f800000, |v1|
	v_floor_f32_e32 v4, v4
	v_fma_f32 v5, 0xcf800000, v4, |v1|
	v_ashrrev_i32_e32 v1, 31, v1
	v_cvt_u32_f32_e32 v4, v4
	v_cvt_u32_f32_e32 v5, v5
	v_xor_b32_e32 v6, v4, v1
	v_xor_b32_e32 v5, v5, v1
	v_sub_co_u32 v4, vcc_lo, v5, v1
	v_sub_co_ci_u32_e64 v5, null, v6, v1, vcc_lo
	global_store_dwordx2 v[2:3], v[4:5], off
.LBB20_124:
	s_andn2_b32 vcc_lo, exec_lo, s6
	s_cbranch_vccnz .LBB20_126
; %bb.125:
	v_cvt_i32_f32_e32 v1, v0
	global_store_dword v[2:3], v1, off
.LBB20_126:
	s_mov_b32 s6, 0
.LBB20_127:
	s_andn2_b32 vcc_lo, exec_lo, s6
	s_cbranch_vccnz .LBB20_129
; %bb.128:
	v_cvt_i32_f32_e32 v1, v0
	global_store_short v[2:3], v1, off
.LBB20_129:
	s_mov_b32 s6, 0
.LBB20_130:
	s_andn2_b32 vcc_lo, exec_lo, s6
	s_cbranch_vccnz .LBB20_135
; %bb.131:
	s_cmp_gt_i32 s5, 0
	s_mov_b32 s5, -1
	s_cbranch_scc0 .LBB20_133
; %bb.132:
	v_cvt_i32_f32_e32 v1, v0
	s_mov_b32 s5, 0
	global_store_byte v[2:3], v1, off
.LBB20_133:
	s_andn2_b32 vcc_lo, exec_lo, s5
	s_cbranch_vccnz .LBB20_135
; %bb.134:
	v_trunc_f32_e32 v0, v0
	v_mul_f32_e64 v1, 0x2f800000, |v0|
	v_floor_f32_e32 v1, v1
	v_fma_f32 v1, 0xcf800000, v1, |v0|
	v_ashrrev_i32_e32 v0, 31, v0
	v_cvt_u32_f32_e32 v1, v1
	v_xor_b32_e32 v1, v1, v0
	v_sub_nc_u32_e32 v0, v1, v0
	global_store_byte v[2:3], v0, off
.LBB20_135:
	s_branch .LBB20_25
.LBB20_136:
	s_mov_b32 s5, 0
                                        ; implicit-def: $vgpr34
.LBB20_137:
	s_and_b32 s49, s4, exec_lo
	s_orn2_b32 s4, s5, exec_lo
.LBB20_138:
	s_or_b32 exec_lo, exec_lo, s50
	s_mov_b32 s6, 0
                                        ; implicit-def: $sgpr5
                                        ; implicit-def: $vgpr2_vgpr3
                                        ; implicit-def: $vgpr0
	s_and_saveexec_b32 s50, s4
	s_cbranch_execz .LBB20_145
; %bb.139:
	s_mov_b32 s7, -1
	s_mov_b32 s51, s49
	s_mov_b32 s52, exec_lo
	v_cmpx_gt_i32_e64 s46, v34
	s_cbranch_execz .LBB20_284
; %bb.140:
	s_andn2_b32 vcc_lo, exec_lo, s42
	s_cbranch_vccnz .LBB20_148
; %bb.141:
	s_andn2_b32 vcc_lo, exec_lo, s48
	s_cbranch_vccnz .LBB20_149
; %bb.142:
	s_add_i32 s9, s47, 1
	s_cmp_eq_u32 s40, 2
	s_cbranch_scc1 .LBB20_150
; %bb.143:
	v_mov_b32_e32 v2, 0
	v_mov_b32_e32 v32, 0
	;; [unrolled: 1-line block ×3, first 2 shown]
	s_and_b32 s8, s9, 28
	s_mov_b32 s10, 0
	s_mov_b64 s[4:5], s[18:19]
	s_mov_b64 s[6:7], s[34:35]
.LBB20_144:                             ; =>This Inner Loop Header: Depth=1
	s_clause 0x1
	s_load_dwordx8 s[56:63], s[4:5], 0x4
	s_load_dwordx4 s[12:15], s[4:5], 0x24
	s_load_dwordx8 s[64:71], s[6:7], 0x0
	s_add_u32 s4, s4, 48
	s_addc_u32 s5, s5, 0
	s_add_i32 s10, s10, 4
	s_add_u32 s6, s6, 32
	s_addc_u32 s7, s7, 0
	s_cmp_eq_u32 s8, s10
	s_waitcnt lgkmcnt(0)
	v_mul_hi_u32 v1, s57, v0
	v_add_nc_u32_e32 v1, v0, v1
	v_lshrrev_b32_e32 v1, s58, v1
	v_mul_hi_u32 v3, s60, v1
	v_mul_lo_u32 v5, v1, s56
	v_add_nc_u32_e32 v3, v1, v3
	v_sub_nc_u32_e32 v0, v0, v5
	v_lshrrev_b32_e32 v3, s61, v3
	v_mul_lo_u32 v5, v0, s64
	v_mul_lo_u32 v7, v0, s65
	v_mul_hi_u32 v4, s63, v3
	v_add_nc_u32_e32 v4, v3, v4
	v_lshrrev_b32_e32 v4, s12, v4
	v_mul_hi_u32 v6, s14, v4
	v_mul_lo_u32 v8, v4, s62
	v_add_nc_u32_e32 v0, v4, v6
	v_mul_lo_u32 v6, v3, s59
	v_sub_nc_u32_e32 v3, v3, v8
	v_lshrrev_b32_e32 v0, s15, v0
	v_mul_lo_u32 v8, v3, s68
	v_mul_lo_u32 v3, v3, s69
	v_sub_nc_u32_e32 v1, v1, v6
	v_mul_lo_u32 v9, v0, s13
	v_mul_lo_u32 v6, v1, s66
	;; [unrolled: 1-line block ×3, first 2 shown]
	v_sub_nc_u32_e32 v4, v4, v9
	v_add3_u32 v5, v5, v32, v6
	v_mul_lo_u32 v9, v4, s70
	v_mul_lo_u32 v4, v4, s71
	v_add3_u32 v1, v7, v2, v1
	v_add3_u32 v32, v8, v5, v9
	;; [unrolled: 1-line block ×3, first 2 shown]
	s_cbranch_scc0 .LBB20_144
	s_branch .LBB20_151
.LBB20_145:
	s_or_b32 exec_lo, exec_lo, s50
	s_mov_b32 s4, 0
	s_and_saveexec_b32 s7, s49
	s_cbranch_execnz .LBB20_530
.LBB20_146:
	s_or_b32 exec_lo, exec_lo, s7
	s_and_saveexec_b32 s7, s51
	s_xor_b32 s7, exec_lo, s7
	s_cbranch_execz .LBB20_531
.LBB20_147:
	v_cmp_neq_f32_e32 vcc_lo, 0, v0
	v_cndmask_b32_e64 v1, 0, 1, vcc_lo
	global_store_byte v[2:3], v1, off
	s_or_b32 exec_lo, exec_lo, s7
	s_and_saveexec_b32 s7, s6
	s_xor_b32 s6, exec_lo, s7
	s_cbranch_execz .LBB20_569
	s_branch .LBB20_532
.LBB20_148:
                                        ; implicit-def: $vgpr32
                                        ; implicit-def: $vgpr2
	s_branch .LBB20_155
.LBB20_149:
	v_mov_b32_e32 v32, 0
	v_mov_b32_e32 v2, 0
	s_branch .LBB20_154
.LBB20_150:
	v_mov_b32_e32 v32, 0
	v_mov_b32_e32 v2, 0
	;; [unrolled: 1-line block ×3, first 2 shown]
	s_mov_b32 s8, 0
.LBB20_151:
	s_and_b32 s9, s9, 3
	s_cmp_eq_u32 s9, 0
	s_cbranch_scc1 .LBB20_154
; %bb.152:
	s_lshl_b32 s4, s8, 3
	s_mul_i32 s6, s8, 12
	s_add_u32 s4, s18, s4
	s_addc_u32 s5, s19, 0
	s_add_u32 s4, s4, 0xc4
	s_addc_u32 s5, s5, 0
	;; [unrolled: 2-line block ×3, first 2 shown]
	.p2align	6
.LBB20_153:                             ; =>This Inner Loop Header: Depth=1
	s_clause 0x1
	s_load_dwordx2 s[10:11], s[6:7], 0x4
	s_load_dword s8, s[6:7], 0xc
	s_load_dwordx2 s[12:13], s[4:5], 0x0
	s_add_u32 s6, s6, 12
	s_addc_u32 s7, s7, 0
	s_add_u32 s4, s4, 8
	s_addc_u32 s5, s5, 0
	s_add_i32 s9, s9, -1
	s_cmp_lg_u32 s9, 0
	s_waitcnt lgkmcnt(0)
	v_mul_hi_u32 v1, s11, v0
	v_add_nc_u32_e32 v1, v0, v1
	v_lshrrev_b32_e32 v1, s8, v1
	v_mul_lo_u32 v3, v1, s10
	v_sub_nc_u32_e32 v0, v0, v3
	v_mad_u64_u32 v[32:33], null, v0, s12, v[32:33]
	v_mad_u64_u32 v[2:3], null, v0, s13, v[2:3]
	v_mov_b32_e32 v0, v1
	s_cbranch_scc1 .LBB20_153
.LBB20_154:
	s_cbranch_execnz .LBB20_157
.LBB20_155:
	s_waitcnt lgkmcnt(0)
	v_mul_hi_u32 v0, s37, v34
	s_andn2_b32 vcc_lo, exec_lo, s45
	v_add_nc_u32_e32 v0, v34, v0
	v_lshrrev_b32_e32 v0, s38, v0
	v_mul_lo_u32 v1, v0, s36
	v_sub_nc_u32_e32 v1, v34, v1
	v_mul_lo_u32 v32, v1, s24
	v_mul_lo_u32 v2, v1, s25
	s_cbranch_vccnz .LBB20_157
; %bb.156:
	v_mul_hi_u32 v1, s28, v0
	v_add_nc_u32_e32 v1, v0, v1
	v_lshrrev_b32_e32 v1, s29, v1
	v_mul_lo_u32 v1, v1, s39
	v_sub_nc_u32_e32 v0, v0, v1
	v_mad_u64_u32 v[32:33], null, v0, s26, v[32:33]
	v_mad_u64_u32 v[2:3], null, v0, s27, v[2:3]
.LBB20_157:
	s_waitcnt lgkmcnt(0)
	v_mov_b32_e32 v0, s22
	v_mov_b32_e32 v1, s23
	;; [unrolled: 1-line block ×3, first 2 shown]
	s_getpc_b64 s[4:5]
	s_add_u32 s4, s4, _ZN2at6native6invokeIZZZNS0_12_GLOBAL__N_121bessel_j1_kernel_cudaERNS_18TensorIteratorBaseEENKUlvE_clEvENKUlvE0_clEvEUlfE_j15function_traitsIS7_EEENT1_11result_typeERKT_PrKPcPKT0_PKN3c1010ScalarTypeEi@rel32@lo+4
	s_addc_u32 s5, s5, _ZN2at6native6invokeIZZZNS0_12_GLOBAL__N_121bessel_j1_kernel_cudaERNS_18TensorIteratorBaseEENKUlvE_clEvENKUlvE0_clEvEUlfE_j15function_traitsIS7_EEENT1_11result_typeERKT_PrKPcPKT0_PKN3c1010ScalarTypeEi@rel32@hi+12
	s_swappc_b64 s[30:31], s[4:5]
	v_add_co_u32 v2, s4, s20, v32
	v_add_co_ci_u32_e64 v3, null, s21, 0, s4
	s_and_b32 s5, s44, 0xff
	s_cmp_lt_i32 s5, 11
	s_cbranch_scc1 .LBB20_164
; %bb.158:
	s_and_b32 s6, 0xffff, s5
	s_cmp_gt_i32 s6, 25
	s_cbranch_scc0 .LBB20_167
; %bb.159:
	s_cmp_gt_i32 s6, 28
	s_cbranch_scc0 .LBB20_168
; %bb.160:
	;; [unrolled: 3-line block ×4, first 2 shown]
	s_mov_b32 s8, 0
	s_mov_b32 s4, -1
	s_cmp_eq_u32 s6, 46
	s_mov_b32 s7, 0
	s_cbranch_scc0 .LBB20_175
; %bb.163:
	v_bfe_u32 v1, v0, 16, 1
	v_cmp_o_f32_e32 vcc_lo, v0, v0
	v_mov_b32_e32 v4, 0x7fc0
	s_mov_b32 s7, -1
	s_mov_b32 s4, 0
	v_add3_u32 v1, v0, v1, 0x7fff
	v_cndmask_b32_sdwa v1, v4, v1, vcc_lo dst_sel:DWORD dst_unused:UNUSED_PAD src0_sel:DWORD src1_sel:WORD_1
	global_store_dword v[2:3], v1, off
	s_branch .LBB20_175
.LBB20_164:
	s_mov_b32 s7, 0
	s_mov_b32 s4, s49
	s_cbranch_execnz .LBB20_244
.LBB20_165:
	s_andn2_b32 vcc_lo, exec_lo, s7
	s_cbranch_vccnz .LBB20_282
.LBB20_166:
	v_add_nc_u32_e32 v34, 0x80, v34
	s_mov_b32 s5, -1
	s_branch .LBB20_283
.LBB20_167:
	s_mov_b32 s8, -1
	s_mov_b32 s7, 0
	s_mov_b32 s4, s49
	s_branch .LBB20_202
.LBB20_168:
	s_mov_b32 s8, -1
	s_mov_b32 s7, 0
	s_mov_b32 s4, s49
	s_branch .LBB20_185
.LBB20_169:
	s_andn2_saveexec_b32 s9, s9
	s_cbranch_execz .LBB20_51
.LBB20_170:
	v_add_f32_e64 v1, 0x46000000, |v0|
	s_andn2_b32 s8, s8, exec_lo
	v_and_b32_e32 v1, 0xff, v1
	v_cmp_ne_u32_e32 vcc_lo, 0, v1
	s_and_b32 s10, vcc_lo, exec_lo
	s_or_b32 s8, s8, s10
	s_or_b32 exec_lo, exec_lo, s9
	v_mov_b32_e32 v4, 0
	s_and_saveexec_b32 s9, s8
	s_cbranch_execnz .LBB20_52
	s_branch .LBB20_53
.LBB20_171:
	s_mov_b32 s8, -1
	s_mov_b32 s7, 0
	s_mov_b32 s4, s49
	s_branch .LBB20_181
.LBB20_172:
	s_andn2_saveexec_b32 s9, s9
	s_cbranch_execz .LBB20_63
.LBB20_173:
	v_add_f32_e64 v1, 0x42800000, |v0|
	s_andn2_b32 s8, s8, exec_lo
	v_and_b32_e32 v1, 0xff, v1
	v_cmp_ne_u32_e32 vcc_lo, 0, v1
	s_and_b32 s10, vcc_lo, exec_lo
	s_or_b32 s8, s8, s10
	s_or_b32 exec_lo, exec_lo, s9
	v_mov_b32_e32 v4, 0
	s_and_saveexec_b32 s9, s8
	s_cbranch_execnz .LBB20_64
	s_branch .LBB20_65
.LBB20_174:
	s_mov_b32 s8, -1
	s_mov_b32 s7, 0
	s_mov_b32 s4, s49
.LBB20_175:
	s_and_b32 vcc_lo, exec_lo, s8
	s_cbranch_vccz .LBB20_180
; %bb.176:
	s_cmp_eq_u32 s6, 44
	s_mov_b32 s4, -1
	s_cbranch_scc0 .LBB20_180
; %bb.177:
	v_bfe_u32 v4, v0, 23, 8
	v_mov_b32_e32 v1, 0xff
	s_mov_b32 s7, exec_lo
	v_cmpx_ne_u32_e32 0xff, v4
	s_cbranch_execz .LBB20_179
; %bb.178:
	v_and_b32_e32 v1, 0x400000, v0
	v_and_or_b32 v4, 0x3fffff, v0, v4
	v_cmp_ne_u32_e32 vcc_lo, 0, v1
	v_cmp_ne_u32_e64 s4, 0, v4
	v_lshrrev_b32_e32 v1, 23, v0
	s_and_b32 s4, vcc_lo, s4
	v_cndmask_b32_e64 v4, 0, 1, s4
	v_add_nc_u32_e32 v1, v1, v4
.LBB20_179:
	s_or_b32 exec_lo, exec_lo, s7
	s_mov_b32 s7, -1
	s_mov_b32 s4, 0
	global_store_byte v[2:3], v1, off
.LBB20_180:
	s_mov_b32 s8, 0
.LBB20_181:
	s_and_b32 vcc_lo, exec_lo, s8
	s_cbranch_vccz .LBB20_184
; %bb.182:
	s_cmp_eq_u32 s6, 29
	s_mov_b32 s4, -1
	s_cbranch_scc0 .LBB20_184
; %bb.183:
	v_trunc_f32_e32 v1, v0
	s_mov_b32 s7, -1
	s_mov_b32 s4, 0
	s_mov_b32 s8, 0
	v_mul_f32_e32 v4, 0x2f800000, v1
	v_floor_f32_e32 v4, v4
	v_fmamk_f32 v1, v4, 0xcf800000, v1
	v_cvt_u32_f32_e32 v5, v4
	v_cvt_u32_f32_e32 v4, v1
	global_store_dwordx2 v[2:3], v[4:5], off
	s_branch .LBB20_185
.LBB20_184:
	s_mov_b32 s8, 0
.LBB20_185:
	s_and_b32 vcc_lo, exec_lo, s8
	s_cbranch_vccz .LBB20_201
; %bb.186:
	s_cmp_lt_i32 s6, 27
	s_mov_b32 s7, -1
	s_cbranch_scc1 .LBB20_192
; %bb.187:
	v_cvt_u32_f32_e32 v1, v0
	s_cmp_gt_i32 s6, 27
	s_cbranch_scc0 .LBB20_189
; %bb.188:
	s_mov_b32 s7, 0
	global_store_dword v[2:3], v1, off
.LBB20_189:
	s_andn2_b32 vcc_lo, exec_lo, s7
	s_cbranch_vccnz .LBB20_191
; %bb.190:
	global_store_short v[2:3], v1, off
.LBB20_191:
	s_mov_b32 s7, 0
.LBB20_192:
	s_andn2_b32 vcc_lo, exec_lo, s7
	s_cbranch_vccnz .LBB20_200
; %bb.193:
	v_and_b32_e32 v1, 0x7fffffff, v0
	v_mov_b32_e32 v4, 0x80
	s_mov_b32 s7, exec_lo
	v_cmpx_gt_u32_e32 0x43800000, v1
	s_cbranch_execz .LBB20_199
; %bb.194:
	v_cmp_lt_u32_e32 vcc_lo, 0x3bffffff, v1
	s_mov_b32 s8, 0
                                        ; implicit-def: $vgpr1
	s_and_saveexec_b32 s9, vcc_lo
	s_xor_b32 s9, exec_lo, s9
	s_cbranch_execz .LBB20_311
; %bb.195:
	v_bfe_u32 v1, v0, 20, 1
	s_mov_b32 s8, exec_lo
	v_add3_u32 v1, v0, v1, 0x487ffff
	v_lshrrev_b32_e32 v1, 20, v1
	s_andn2_saveexec_b32 s9, s9
	s_cbranch_execnz .LBB20_312
.LBB20_196:
	s_or_b32 exec_lo, exec_lo, s9
	v_mov_b32_e32 v4, 0
	s_and_saveexec_b32 s9, s8
.LBB20_197:
	v_lshrrev_b32_e32 v4, 24, v0
	v_and_or_b32 v4, 0x80, v4, v1
.LBB20_198:
	s_or_b32 exec_lo, exec_lo, s9
.LBB20_199:
	s_or_b32 exec_lo, exec_lo, s7
	global_store_byte v[2:3], v4, off
.LBB20_200:
	s_mov_b32 s7, -1
.LBB20_201:
	s_mov_b32 s8, 0
.LBB20_202:
	s_and_b32 vcc_lo, exec_lo, s8
	s_cbranch_vccz .LBB20_243
; %bb.203:
	s_cmp_gt_i32 s6, 22
	s_mov_b32 s8, -1
	s_cbranch_scc0 .LBB20_235
; %bb.204:
	s_cmp_lt_i32 s6, 24
	s_mov_b32 s7, -1
	s_cbranch_scc1 .LBB20_224
; %bb.205:
	s_cmp_gt_i32 s6, 24
	s_cbranch_scc0 .LBB20_213
; %bb.206:
	v_and_b32_e32 v1, 0x7fffffff, v0
	v_mov_b32_e32 v4, 0x80
	s_mov_b32 s7, exec_lo
	v_cmpx_gt_u32_e32 0x47800000, v1
	s_cbranch_execz .LBB20_212
; %bb.207:
	v_cmp_lt_u32_e32 vcc_lo, 0x37ffffff, v1
	s_mov_b32 s8, 0
                                        ; implicit-def: $vgpr1
	s_and_saveexec_b32 s9, vcc_lo
	s_xor_b32 s9, exec_lo, s9
	s_cbranch_execz .LBB20_314
; %bb.208:
	v_bfe_u32 v1, v0, 21, 1
	s_mov_b32 s8, exec_lo
	v_add3_u32 v1, v0, v1, 0x88fffff
	v_lshrrev_b32_e32 v1, 21, v1
	s_andn2_saveexec_b32 s9, s9
	s_cbranch_execnz .LBB20_315
.LBB20_209:
	s_or_b32 exec_lo, exec_lo, s9
	v_mov_b32_e32 v4, 0
	s_and_saveexec_b32 s9, s8
.LBB20_210:
	v_lshrrev_b32_e32 v4, 24, v0
	v_and_or_b32 v4, 0x80, v4, v1
.LBB20_211:
	s_or_b32 exec_lo, exec_lo, s9
.LBB20_212:
	s_or_b32 exec_lo, exec_lo, s7
	s_mov_b32 s7, 0
	global_store_byte v[2:3], v4, off
.LBB20_213:
	s_and_b32 vcc_lo, exec_lo, s7
	s_cbranch_vccz .LBB20_223
; %bb.214:
	v_and_b32_e32 v4, 0x7fffffff, v0
	s_mov_b32 s7, exec_lo
                                        ; implicit-def: $vgpr1
	v_cmpx_gt_u32_e32 0x43f00000, v4
	s_xor_b32 s7, exec_lo, s7
	s_cbranch_execz .LBB20_220
; %bb.215:
	s_mov_b32 s8, exec_lo
                                        ; implicit-def: $vgpr1
	v_cmpx_lt_u32_e32 0x3c7fffff, v4
	s_xor_b32 s8, exec_lo, s8
; %bb.216:
	v_bfe_u32 v1, v0, 20, 1
	v_add3_u32 v1, v0, v1, 0x407ffff
	v_and_b32_e32 v4, 0xff00000, v1
	v_lshrrev_b32_e32 v1, 20, v1
	v_cmp_ne_u32_e32 vcc_lo, 0x7f00000, v4
	v_cndmask_b32_e32 v1, 0x7e, v1, vcc_lo
; %bb.217:
	s_andn2_saveexec_b32 s8, s8
; %bb.218:
	v_add_f32_e64 v1, 0x46800000, |v0|
; %bb.219:
	s_or_b32 exec_lo, exec_lo, s8
                                        ; implicit-def: $vgpr4
.LBB20_220:
	s_andn2_saveexec_b32 s7, s7
; %bb.221:
	v_mov_b32_e32 v1, 0x7f
	v_cmp_lt_u32_e32 vcc_lo, 0x7f800000, v4
	v_cndmask_b32_e32 v1, 0x7e, v1, vcc_lo
; %bb.222:
	s_or_b32 exec_lo, exec_lo, s7
	v_lshrrev_b32_e32 v4, 24, v0
	v_and_or_b32 v1, 0x80, v4, v1
	global_store_byte v[2:3], v1, off
.LBB20_223:
	s_mov_b32 s7, 0
.LBB20_224:
	s_andn2_b32 vcc_lo, exec_lo, s7
	s_cbranch_vccnz .LBB20_234
; %bb.225:
	v_and_b32_e32 v4, 0x7fffffff, v0
	s_mov_b32 s7, exec_lo
                                        ; implicit-def: $vgpr1
	v_cmpx_gt_u32_e32 0x47800000, v4
	s_xor_b32 s7, exec_lo, s7
	s_cbranch_execz .LBB20_231
; %bb.226:
	s_mov_b32 s8, exec_lo
                                        ; implicit-def: $vgpr1
	v_cmpx_lt_u32_e32 0x387fffff, v4
	s_xor_b32 s8, exec_lo, s8
; %bb.227:
	v_bfe_u32 v1, v0, 21, 1
	v_add3_u32 v1, v0, v1, 0x80fffff
	v_lshrrev_b32_e32 v1, 21, v1
; %bb.228:
	s_andn2_saveexec_b32 s8, s8
; %bb.229:
	v_add_f32_e64 v1, 0x43000000, |v0|
; %bb.230:
	s_or_b32 exec_lo, exec_lo, s8
                                        ; implicit-def: $vgpr4
.LBB20_231:
	s_andn2_saveexec_b32 s7, s7
; %bb.232:
	v_mov_b32_e32 v1, 0x7f
	v_cmp_lt_u32_e32 vcc_lo, 0x7f800000, v4
	v_cndmask_b32_e32 v1, 0x7c, v1, vcc_lo
; %bb.233:
	s_or_b32 exec_lo, exec_lo, s7
	v_lshrrev_b32_e32 v4, 24, v0
	v_and_or_b32 v1, 0x80, v4, v1
	global_store_byte v[2:3], v1, off
.LBB20_234:
	s_mov_b32 s8, 0
	s_mov_b32 s7, -1
.LBB20_235:
	s_andn2_b32 vcc_lo, exec_lo, s8
	s_cbranch_vccnz .LBB20_243
; %bb.236:
	s_cmp_gt_i32 s6, 14
	s_mov_b32 s8, -1
	s_cbranch_scc0 .LBB20_240
; %bb.237:
	s_cmp_eq_u32 s6, 15
	s_mov_b32 s4, -1
	s_cbranch_scc0 .LBB20_239
; %bb.238:
	v_bfe_u32 v1, v0, 16, 1
	v_cmp_o_f32_e32 vcc_lo, v0, v0
	v_mov_b32_e32 v4, 0x7fc0
	s_mov_b32 s7, -1
	s_mov_b32 s4, 0
	v_add3_u32 v1, v0, v1, 0x7fff
	v_cndmask_b32_sdwa v1, v4, v1, vcc_lo dst_sel:DWORD dst_unused:UNUSED_PAD src0_sel:DWORD src1_sel:WORD_1
	global_store_short v[2:3], v1, off
.LBB20_239:
	s_mov_b32 s8, 0
.LBB20_240:
	s_and_b32 vcc_lo, exec_lo, s8
	s_cbranch_vccz .LBB20_243
; %bb.241:
	s_cmp_eq_u32 s6, 11
	s_mov_b32 s4, -1
	s_cbranch_scc0 .LBB20_243
; %bb.242:
	v_cmp_neq_f32_e32 vcc_lo, 0, v0
	s_mov_b32 s4, 0
	s_mov_b32 s7, -1
	v_cndmask_b32_e64 v1, 0, 1, vcc_lo
	global_store_byte v[2:3], v1, off
.LBB20_243:
	s_branch .LBB20_165
.LBB20_244:
	s_and_b32 s5, 0xffff, s5
	s_mov_b32 s6, -1
	s_cmp_lt_i32 s5, 5
	s_cbranch_scc1 .LBB20_265
; %bb.245:
	s_cmp_lt_i32 s5, 8
	s_cbranch_scc1 .LBB20_255
; %bb.246:
	;; [unrolled: 3-line block ×3, first 2 shown]
	s_cmp_gt_i32 s5, 9
	s_cbranch_scc0 .LBB20_249
; %bb.248:
	v_cvt_f64_f32_e32 v[4:5], v0
	v_mov_b32_e32 v6, 0
	s_mov_b32 s6, 0
	v_mov_b32_e32 v7, v6
	global_store_dwordx4 v[2:3], v[4:7], off
.LBB20_249:
	s_andn2_b32 vcc_lo, exec_lo, s6
	s_cbranch_vccnz .LBB20_251
; %bb.250:
	v_mov_b32_e32 v1, 0
	global_store_dwordx2 v[2:3], v[0:1], off
.LBB20_251:
	s_mov_b32 s6, 0
.LBB20_252:
	s_andn2_b32 vcc_lo, exec_lo, s6
	s_cbranch_vccnz .LBB20_254
; %bb.253:
	v_cvt_f16_f32_e32 v1, v0
	v_and_b32_e32 v1, 0xffff, v1
	global_store_dword v[2:3], v1, off
.LBB20_254:
	s_mov_b32 s6, 0
.LBB20_255:
	s_andn2_b32 vcc_lo, exec_lo, s6
	s_cbranch_vccnz .LBB20_264
; %bb.256:
	s_cmp_lt_i32 s5, 6
	s_mov_b32 s6, -1
	s_cbranch_scc1 .LBB20_262
; %bb.257:
	s_cmp_gt_i32 s5, 6
	s_cbranch_scc0 .LBB20_259
; %bb.258:
	v_cvt_f64_f32_e32 v[4:5], v0
	s_mov_b32 s6, 0
	global_store_dwordx2 v[2:3], v[4:5], off
.LBB20_259:
	s_andn2_b32 vcc_lo, exec_lo, s6
	s_cbranch_vccnz .LBB20_261
; %bb.260:
	global_store_dword v[2:3], v0, off
.LBB20_261:
	s_mov_b32 s6, 0
.LBB20_262:
	s_andn2_b32 vcc_lo, exec_lo, s6
	s_cbranch_vccnz .LBB20_264
; %bb.263:
	v_cvt_f16_f32_e32 v1, v0
	global_store_short v[2:3], v1, off
.LBB20_264:
	s_mov_b32 s6, 0
.LBB20_265:
	s_andn2_b32 vcc_lo, exec_lo, s6
	s_cbranch_vccnz .LBB20_281
; %bb.266:
	s_cmp_lt_i32 s5, 2
	s_mov_b32 s6, -1
	s_cbranch_scc1 .LBB20_276
; %bb.267:
	s_cmp_lt_i32 s5, 3
	s_cbranch_scc1 .LBB20_273
; %bb.268:
	s_cmp_gt_i32 s5, 3
	s_cbranch_scc0 .LBB20_270
; %bb.269:
	v_trunc_f32_e32 v1, v0
	s_mov_b32 s6, 0
	v_mul_f32_e64 v4, 0x2f800000, |v1|
	v_floor_f32_e32 v4, v4
	v_fma_f32 v5, 0xcf800000, v4, |v1|
	v_ashrrev_i32_e32 v1, 31, v1
	v_cvt_u32_f32_e32 v4, v4
	v_cvt_u32_f32_e32 v5, v5
	v_xor_b32_e32 v6, v4, v1
	v_xor_b32_e32 v5, v5, v1
	v_sub_co_u32 v4, vcc_lo, v5, v1
	v_sub_co_ci_u32_e64 v5, null, v6, v1, vcc_lo
	global_store_dwordx2 v[2:3], v[4:5], off
.LBB20_270:
	s_andn2_b32 vcc_lo, exec_lo, s6
	s_cbranch_vccnz .LBB20_272
; %bb.271:
	v_cvt_i32_f32_e32 v1, v0
	global_store_dword v[2:3], v1, off
.LBB20_272:
	s_mov_b32 s6, 0
.LBB20_273:
	s_andn2_b32 vcc_lo, exec_lo, s6
	s_cbranch_vccnz .LBB20_275
; %bb.274:
	v_cvt_i32_f32_e32 v1, v0
	global_store_short v[2:3], v1, off
.LBB20_275:
	s_mov_b32 s6, 0
.LBB20_276:
	s_andn2_b32 vcc_lo, exec_lo, s6
	s_cbranch_vccnz .LBB20_281
; %bb.277:
	s_cmp_gt_i32 s5, 0
	s_mov_b32 s5, -1
	s_cbranch_scc0 .LBB20_279
; %bb.278:
	v_cvt_i32_f32_e32 v1, v0
	s_mov_b32 s5, 0
	global_store_byte v[2:3], v1, off
.LBB20_279:
	s_andn2_b32 vcc_lo, exec_lo, s5
	s_cbranch_vccnz .LBB20_281
; %bb.280:
	v_trunc_f32_e32 v0, v0
	v_mul_f32_e64 v1, 0x2f800000, |v0|
	v_floor_f32_e32 v1, v1
	v_fma_f32 v1, 0xcf800000, v1, |v0|
	v_ashrrev_i32_e32 v0, 31, v0
	v_cvt_u32_f32_e32 v1, v1
	v_xor_b32_e32 v1, v1, v0
	v_sub_nc_u32_e32 v0, v1, v0
	global_store_byte v[2:3], v0, off
.LBB20_281:
	s_branch .LBB20_166
.LBB20_282:
	s_mov_b32 s5, 0
                                        ; implicit-def: $vgpr34
.LBB20_283:
	s_andn2_b32 s6, s49, exec_lo
	s_and_b32 s4, s4, exec_lo
	s_orn2_b32 s7, s5, exec_lo
	s_or_b32 s51, s6, s4
.LBB20_284:
	s_or_b32 exec_lo, exec_lo, s52
	s_mov_b32 s4, 0
	s_mov_b32 s6, 0
                                        ; implicit-def: $sgpr5
                                        ; implicit-def: $vgpr2_vgpr3
                                        ; implicit-def: $vgpr0
	s_and_saveexec_b32 s52, s7
	s_cbranch_execz .LBB20_529
; %bb.285:
	s_mov_b32 s7, -1
	s_mov_b32 s54, s51
	s_mov_b32 s53, exec_lo
	v_cmpx_gt_i32_e64 s46, v34
	s_cbranch_execz .LBB20_429
; %bb.286:
	s_andn2_b32 vcc_lo, exec_lo, s42
	s_cbranch_vccnz .LBB20_291
; %bb.287:
	s_andn2_b32 vcc_lo, exec_lo, s48
	s_cbranch_vccnz .LBB20_292
; %bb.288:
	s_add_i32 s9, s47, 1
	s_cmp_eq_u32 s40, 2
	s_cbranch_scc1 .LBB20_293
; %bb.289:
	v_mov_b32_e32 v2, 0
	v_mov_b32_e32 v32, 0
	;; [unrolled: 1-line block ×3, first 2 shown]
	s_and_b32 s8, s9, 28
	s_mov_b32 s10, 0
	s_mov_b64 s[4:5], s[18:19]
	s_mov_b64 s[6:7], s[34:35]
.LBB20_290:                             ; =>This Inner Loop Header: Depth=1
	s_clause 0x1
	s_load_dwordx8 s[56:63], s[4:5], 0x4
	s_load_dwordx4 s[12:15], s[4:5], 0x24
	s_load_dwordx8 s[64:71], s[6:7], 0x0
	s_add_u32 s4, s4, 48
	s_addc_u32 s5, s5, 0
	s_add_i32 s10, s10, 4
	s_add_u32 s6, s6, 32
	s_addc_u32 s7, s7, 0
	s_cmp_eq_u32 s8, s10
	s_waitcnt lgkmcnt(0)
	v_mul_hi_u32 v1, s57, v0
	v_add_nc_u32_e32 v1, v0, v1
	v_lshrrev_b32_e32 v1, s58, v1
	v_mul_hi_u32 v3, s60, v1
	v_mul_lo_u32 v5, v1, s56
	v_add_nc_u32_e32 v3, v1, v3
	v_sub_nc_u32_e32 v0, v0, v5
	v_lshrrev_b32_e32 v3, s61, v3
	v_mul_lo_u32 v5, v0, s64
	v_mul_lo_u32 v7, v0, s65
	v_mul_hi_u32 v4, s63, v3
	v_add_nc_u32_e32 v4, v3, v4
	v_lshrrev_b32_e32 v4, s12, v4
	v_mul_hi_u32 v6, s14, v4
	v_mul_lo_u32 v8, v4, s62
	v_add_nc_u32_e32 v0, v4, v6
	v_mul_lo_u32 v6, v3, s59
	v_sub_nc_u32_e32 v3, v3, v8
	v_lshrrev_b32_e32 v0, s15, v0
	v_mul_lo_u32 v8, v3, s68
	v_mul_lo_u32 v3, v3, s69
	v_sub_nc_u32_e32 v1, v1, v6
	v_mul_lo_u32 v9, v0, s13
	v_mul_lo_u32 v6, v1, s66
	;; [unrolled: 1-line block ×3, first 2 shown]
	v_sub_nc_u32_e32 v4, v4, v9
	v_add3_u32 v5, v5, v32, v6
	v_mul_lo_u32 v9, v4, s70
	v_mul_lo_u32 v4, v4, s71
	v_add3_u32 v1, v7, v2, v1
	v_add3_u32 v32, v8, v5, v9
	;; [unrolled: 1-line block ×3, first 2 shown]
	s_cbranch_scc0 .LBB20_290
	s_branch .LBB20_294
.LBB20_291:
	s_mov_b32 s4, -1
                                        ; implicit-def: $vgpr32
                                        ; implicit-def: $vgpr2
	s_branch .LBB20_298
.LBB20_292:
	v_mov_b32_e32 v32, 0
	v_mov_b32_e32 v2, 0
	s_branch .LBB20_297
.LBB20_293:
	v_mov_b32_e32 v32, 0
	v_mov_b32_e32 v2, 0
	;; [unrolled: 1-line block ×3, first 2 shown]
	s_mov_b32 s8, 0
.LBB20_294:
	s_and_b32 s9, s9, 3
	s_cmp_eq_u32 s9, 0
	s_cbranch_scc1 .LBB20_297
; %bb.295:
	s_lshl_b32 s4, s8, 3
	s_mul_i32 s6, s8, 12
	s_add_u32 s4, s18, s4
	s_addc_u32 s5, s19, 0
	s_add_u32 s4, s4, 0xc4
	s_addc_u32 s5, s5, 0
	;; [unrolled: 2-line block ×3, first 2 shown]
	.p2align	6
.LBB20_296:                             ; =>This Inner Loop Header: Depth=1
	s_clause 0x1
	s_load_dwordx2 s[10:11], s[6:7], 0x4
	s_load_dword s8, s[6:7], 0xc
	s_load_dwordx2 s[12:13], s[4:5], 0x0
	s_add_u32 s6, s6, 12
	s_addc_u32 s7, s7, 0
	s_add_u32 s4, s4, 8
	s_addc_u32 s5, s5, 0
	s_add_i32 s9, s9, -1
	s_cmp_lg_u32 s9, 0
	s_waitcnt lgkmcnt(0)
	v_mul_hi_u32 v1, s11, v0
	v_add_nc_u32_e32 v1, v0, v1
	v_lshrrev_b32_e32 v1, s8, v1
	v_mul_lo_u32 v3, v1, s10
	v_sub_nc_u32_e32 v0, v0, v3
	v_mad_u64_u32 v[32:33], null, v0, s12, v[32:33]
	v_mad_u64_u32 v[2:3], null, v0, s13, v[2:3]
	v_mov_b32_e32 v0, v1
	s_cbranch_scc1 .LBB20_296
.LBB20_297:
	s_mov_b32 s4, 0
.LBB20_298:
	s_andn2_b32 vcc_lo, exec_lo, s4
	s_cbranch_vccnz .LBB20_301
; %bb.299:
	s_waitcnt lgkmcnt(0)
	v_mul_hi_u32 v0, s37, v34
	s_andn2_b32 vcc_lo, exec_lo, s45
	v_add_nc_u32_e32 v0, v34, v0
	v_lshrrev_b32_e32 v0, s38, v0
	v_mul_lo_u32 v1, v0, s36
	v_sub_nc_u32_e32 v1, v34, v1
	v_mul_lo_u32 v32, v1, s24
	v_mul_lo_u32 v2, v1, s25
	s_cbranch_vccnz .LBB20_301
; %bb.300:
	v_mul_hi_u32 v1, s28, v0
	v_add_nc_u32_e32 v1, v0, v1
	v_lshrrev_b32_e32 v1, s29, v1
	v_mul_lo_u32 v1, v1, s39
	v_sub_nc_u32_e32 v0, v0, v1
	v_mad_u64_u32 v[32:33], null, v0, s26, v[32:33]
	v_mad_u64_u32 v[2:3], null, v0, s27, v[2:3]
.LBB20_301:
	s_waitcnt lgkmcnt(0)
	v_mov_b32_e32 v0, s22
	v_mov_b32_e32 v1, s23
	;; [unrolled: 1-line block ×3, first 2 shown]
	s_getpc_b64 s[4:5]
	s_add_u32 s4, s4, _ZN2at6native6invokeIZZZNS0_12_GLOBAL__N_121bessel_j1_kernel_cudaERNS_18TensorIteratorBaseEENKUlvE_clEvENKUlvE0_clEvEUlfE_j15function_traitsIS7_EEENT1_11result_typeERKT_PrKPcPKT0_PKN3c1010ScalarTypeEi@rel32@lo+4
	s_addc_u32 s5, s5, _ZN2at6native6invokeIZZZNS0_12_GLOBAL__N_121bessel_j1_kernel_cudaERNS_18TensorIteratorBaseEENKUlvE_clEvENKUlvE0_clEvEUlfE_j15function_traitsIS7_EEENT1_11result_typeERKT_PrKPcPKT0_PKN3c1010ScalarTypeEi@rel32@hi+12
	s_swappc_b64 s[30:31], s[4:5]
	v_add_co_u32 v2, s4, s20, v32
	v_add_co_ci_u32_e64 v3, null, s21, 0, s4
	s_and_b32 s5, s44, 0xff
	s_cmp_lt_i32 s5, 11
	s_cbranch_scc1 .LBB20_308
; %bb.302:
	s_and_b32 s6, 0xffff, s5
	s_cmp_gt_i32 s6, 25
	s_cbranch_scc0 .LBB20_309
; %bb.303:
	s_cmp_gt_i32 s6, 28
	s_cbranch_scc0 .LBB20_310
; %bb.304:
	s_cmp_gt_i32 s6, 43
	s_cbranch_scc0 .LBB20_313
; %bb.305:
	s_cmp_gt_i32 s6, 45
	s_cbranch_scc0 .LBB20_316
; %bb.306:
	s_mov_b32 s8, 0
	s_mov_b32 s4, -1
	s_cmp_eq_u32 s6, 46
	s_mov_b32 s7, 0
	s_cbranch_scc0 .LBB20_317
; %bb.307:
	v_bfe_u32 v1, v0, 16, 1
	v_cmp_o_f32_e32 vcc_lo, v0, v0
	v_mov_b32_e32 v4, 0x7fc0
	s_mov_b32 s7, -1
	s_mov_b32 s4, 0
	v_add3_u32 v1, v0, v1, 0x7fff
	v_cndmask_b32_sdwa v1, v4, v1, vcc_lo dst_sel:DWORD dst_unused:UNUSED_PAD src0_sel:DWORD src1_sel:WORD_1
	global_store_dword v[2:3], v1, off
	s_branch .LBB20_317
.LBB20_308:
	s_mov_b32 s6, -1
	s_mov_b32 s7, 0
	s_mov_b32 s4, s51
	s_branch .LBB20_386
.LBB20_309:
	s_mov_b32 s8, -1
	s_mov_b32 s7, 0
	s_mov_b32 s4, s51
	s_branch .LBB20_344
.LBB20_310:
	s_mov_b32 s8, -1
	s_mov_b32 s7, 0
	s_mov_b32 s4, s51
	s_branch .LBB20_327
.LBB20_311:
	s_andn2_saveexec_b32 s9, s9
	s_cbranch_execz .LBB20_196
.LBB20_312:
	v_add_f32_e64 v1, 0x46000000, |v0|
	s_andn2_b32 s8, s8, exec_lo
	v_and_b32_e32 v1, 0xff, v1
	v_cmp_ne_u32_e32 vcc_lo, 0, v1
	s_and_b32 s10, vcc_lo, exec_lo
	s_or_b32 s8, s8, s10
	s_or_b32 exec_lo, exec_lo, s9
	v_mov_b32_e32 v4, 0
	s_and_saveexec_b32 s9, s8
	s_cbranch_execnz .LBB20_197
	s_branch .LBB20_198
.LBB20_313:
	s_mov_b32 s8, -1
	s_mov_b32 s7, 0
	s_mov_b32 s4, s51
	s_branch .LBB20_323
.LBB20_314:
	s_andn2_saveexec_b32 s9, s9
	s_cbranch_execz .LBB20_209
.LBB20_315:
	v_add_f32_e64 v1, 0x42800000, |v0|
	s_andn2_b32 s8, s8, exec_lo
	v_and_b32_e32 v1, 0xff, v1
	v_cmp_ne_u32_e32 vcc_lo, 0, v1
	s_and_b32 s10, vcc_lo, exec_lo
	s_or_b32 s8, s8, s10
	s_or_b32 exec_lo, exec_lo, s9
	v_mov_b32_e32 v4, 0
	s_and_saveexec_b32 s9, s8
	s_cbranch_execnz .LBB20_210
	s_branch .LBB20_211
.LBB20_316:
	s_mov_b32 s8, -1
	s_mov_b32 s7, 0
	s_mov_b32 s4, s51
.LBB20_317:
	s_and_b32 vcc_lo, exec_lo, s8
	s_cbranch_vccz .LBB20_322
; %bb.318:
	s_cmp_eq_u32 s6, 44
	s_mov_b32 s4, -1
	s_cbranch_scc0 .LBB20_322
; %bb.319:
	v_bfe_u32 v4, v0, 23, 8
	v_mov_b32_e32 v1, 0xff
	s_mov_b32 s7, exec_lo
	v_cmpx_ne_u32_e32 0xff, v4
	s_cbranch_execz .LBB20_321
; %bb.320:
	v_and_b32_e32 v1, 0x400000, v0
	v_and_or_b32 v4, 0x3fffff, v0, v4
	v_cmp_ne_u32_e32 vcc_lo, 0, v1
	v_cmp_ne_u32_e64 s4, 0, v4
	v_lshrrev_b32_e32 v1, 23, v0
	s_and_b32 s4, vcc_lo, s4
	v_cndmask_b32_e64 v4, 0, 1, s4
	v_add_nc_u32_e32 v1, v1, v4
.LBB20_321:
	s_or_b32 exec_lo, exec_lo, s7
	s_mov_b32 s7, -1
	s_mov_b32 s4, 0
	global_store_byte v[2:3], v1, off
.LBB20_322:
	s_mov_b32 s8, 0
.LBB20_323:
	s_and_b32 vcc_lo, exec_lo, s8
	s_cbranch_vccz .LBB20_326
; %bb.324:
	s_cmp_eq_u32 s6, 29
	s_mov_b32 s4, -1
	s_cbranch_scc0 .LBB20_326
; %bb.325:
	v_trunc_f32_e32 v1, v0
	s_mov_b32 s7, -1
	s_mov_b32 s4, 0
	s_mov_b32 s8, 0
	v_mul_f32_e32 v4, 0x2f800000, v1
	v_floor_f32_e32 v4, v4
	v_fmamk_f32 v1, v4, 0xcf800000, v1
	v_cvt_u32_f32_e32 v5, v4
	v_cvt_u32_f32_e32 v4, v1
	global_store_dwordx2 v[2:3], v[4:5], off
	s_branch .LBB20_327
.LBB20_326:
	s_mov_b32 s8, 0
.LBB20_327:
	s_and_b32 vcc_lo, exec_lo, s8
	s_cbranch_vccz .LBB20_343
; %bb.328:
	s_cmp_lt_i32 s6, 27
	s_mov_b32 s7, -1
	s_cbranch_scc1 .LBB20_334
; %bb.329:
	v_cvt_u32_f32_e32 v1, v0
	s_cmp_gt_i32 s6, 27
	s_cbranch_scc0 .LBB20_331
; %bb.330:
	s_mov_b32 s7, 0
	global_store_dword v[2:3], v1, off
.LBB20_331:
	s_andn2_b32 vcc_lo, exec_lo, s7
	s_cbranch_vccnz .LBB20_333
; %bb.332:
	global_store_short v[2:3], v1, off
.LBB20_333:
	s_mov_b32 s7, 0
.LBB20_334:
	s_andn2_b32 vcc_lo, exec_lo, s7
	s_cbranch_vccnz .LBB20_342
; %bb.335:
	v_and_b32_e32 v1, 0x7fffffff, v0
	v_mov_b32_e32 v4, 0x80
	s_mov_b32 s7, exec_lo
	v_cmpx_gt_u32_e32 0x43800000, v1
	s_cbranch_execz .LBB20_341
; %bb.336:
	v_cmp_lt_u32_e32 vcc_lo, 0x3bffffff, v1
	s_mov_b32 s8, 0
                                        ; implicit-def: $vgpr1
	s_and_saveexec_b32 s9, vcc_lo
	s_xor_b32 s9, exec_lo, s9
	s_cbranch_execz .LBB20_454
; %bb.337:
	v_bfe_u32 v1, v0, 20, 1
	s_mov_b32 s8, exec_lo
	v_add3_u32 v1, v0, v1, 0x487ffff
	v_lshrrev_b32_e32 v1, 20, v1
	s_andn2_saveexec_b32 s9, s9
	s_cbranch_execnz .LBB20_455
.LBB20_338:
	s_or_b32 exec_lo, exec_lo, s9
	v_mov_b32_e32 v4, 0
	s_and_saveexec_b32 s9, s8
.LBB20_339:
	v_lshrrev_b32_e32 v4, 24, v0
	v_and_or_b32 v4, 0x80, v4, v1
.LBB20_340:
	s_or_b32 exec_lo, exec_lo, s9
.LBB20_341:
	s_or_b32 exec_lo, exec_lo, s7
	global_store_byte v[2:3], v4, off
.LBB20_342:
	s_mov_b32 s7, -1
.LBB20_343:
	s_mov_b32 s8, 0
.LBB20_344:
	s_and_b32 vcc_lo, exec_lo, s8
	s_cbranch_vccz .LBB20_385
; %bb.345:
	s_cmp_gt_i32 s6, 22
	s_mov_b32 s8, -1
	s_cbranch_scc0 .LBB20_377
; %bb.346:
	s_cmp_lt_i32 s6, 24
	s_mov_b32 s7, -1
	s_cbranch_scc1 .LBB20_366
; %bb.347:
	s_cmp_gt_i32 s6, 24
	s_cbranch_scc0 .LBB20_355
; %bb.348:
	v_and_b32_e32 v1, 0x7fffffff, v0
	v_mov_b32_e32 v4, 0x80
	s_mov_b32 s7, exec_lo
	v_cmpx_gt_u32_e32 0x47800000, v1
	s_cbranch_execz .LBB20_354
; %bb.349:
	v_cmp_lt_u32_e32 vcc_lo, 0x37ffffff, v1
	s_mov_b32 s8, 0
                                        ; implicit-def: $vgpr1
	s_and_saveexec_b32 s9, vcc_lo
	s_xor_b32 s9, exec_lo, s9
	s_cbranch_execz .LBB20_456
; %bb.350:
	v_bfe_u32 v1, v0, 21, 1
	s_mov_b32 s8, exec_lo
	v_add3_u32 v1, v0, v1, 0x88fffff
	v_lshrrev_b32_e32 v1, 21, v1
	s_andn2_saveexec_b32 s9, s9
	s_cbranch_execnz .LBB20_457
.LBB20_351:
	s_or_b32 exec_lo, exec_lo, s9
	v_mov_b32_e32 v4, 0
	s_and_saveexec_b32 s9, s8
.LBB20_352:
	v_lshrrev_b32_e32 v4, 24, v0
	v_and_or_b32 v4, 0x80, v4, v1
.LBB20_353:
	s_or_b32 exec_lo, exec_lo, s9
.LBB20_354:
	s_or_b32 exec_lo, exec_lo, s7
	s_mov_b32 s7, 0
	global_store_byte v[2:3], v4, off
.LBB20_355:
	s_and_b32 vcc_lo, exec_lo, s7
	s_cbranch_vccz .LBB20_365
; %bb.356:
	v_and_b32_e32 v4, 0x7fffffff, v0
	s_mov_b32 s7, exec_lo
                                        ; implicit-def: $vgpr1
	v_cmpx_gt_u32_e32 0x43f00000, v4
	s_xor_b32 s7, exec_lo, s7
	s_cbranch_execz .LBB20_362
; %bb.357:
	s_mov_b32 s8, exec_lo
                                        ; implicit-def: $vgpr1
	v_cmpx_lt_u32_e32 0x3c7fffff, v4
	s_xor_b32 s8, exec_lo, s8
; %bb.358:
	v_bfe_u32 v1, v0, 20, 1
	v_add3_u32 v1, v0, v1, 0x407ffff
	v_and_b32_e32 v4, 0xff00000, v1
	v_lshrrev_b32_e32 v1, 20, v1
	v_cmp_ne_u32_e32 vcc_lo, 0x7f00000, v4
	v_cndmask_b32_e32 v1, 0x7e, v1, vcc_lo
; %bb.359:
	s_andn2_saveexec_b32 s8, s8
; %bb.360:
	v_add_f32_e64 v1, 0x46800000, |v0|
; %bb.361:
	s_or_b32 exec_lo, exec_lo, s8
                                        ; implicit-def: $vgpr4
.LBB20_362:
	s_andn2_saveexec_b32 s7, s7
; %bb.363:
	v_mov_b32_e32 v1, 0x7f
	v_cmp_lt_u32_e32 vcc_lo, 0x7f800000, v4
	v_cndmask_b32_e32 v1, 0x7e, v1, vcc_lo
; %bb.364:
	s_or_b32 exec_lo, exec_lo, s7
	v_lshrrev_b32_e32 v4, 24, v0
	v_and_or_b32 v1, 0x80, v4, v1
	global_store_byte v[2:3], v1, off
.LBB20_365:
	s_mov_b32 s7, 0
.LBB20_366:
	s_andn2_b32 vcc_lo, exec_lo, s7
	s_cbranch_vccnz .LBB20_376
; %bb.367:
	v_and_b32_e32 v4, 0x7fffffff, v0
	s_mov_b32 s7, exec_lo
                                        ; implicit-def: $vgpr1
	v_cmpx_gt_u32_e32 0x47800000, v4
	s_xor_b32 s7, exec_lo, s7
	s_cbranch_execz .LBB20_373
; %bb.368:
	s_mov_b32 s8, exec_lo
                                        ; implicit-def: $vgpr1
	v_cmpx_lt_u32_e32 0x387fffff, v4
	s_xor_b32 s8, exec_lo, s8
; %bb.369:
	v_bfe_u32 v1, v0, 21, 1
	v_add3_u32 v1, v0, v1, 0x80fffff
	v_lshrrev_b32_e32 v1, 21, v1
; %bb.370:
	s_andn2_saveexec_b32 s8, s8
; %bb.371:
	v_add_f32_e64 v1, 0x43000000, |v0|
; %bb.372:
	s_or_b32 exec_lo, exec_lo, s8
                                        ; implicit-def: $vgpr4
.LBB20_373:
	s_andn2_saveexec_b32 s7, s7
; %bb.374:
	v_mov_b32_e32 v1, 0x7f
	v_cmp_lt_u32_e32 vcc_lo, 0x7f800000, v4
	v_cndmask_b32_e32 v1, 0x7c, v1, vcc_lo
; %bb.375:
	s_or_b32 exec_lo, exec_lo, s7
	v_lshrrev_b32_e32 v4, 24, v0
	v_and_or_b32 v1, 0x80, v4, v1
	global_store_byte v[2:3], v1, off
.LBB20_376:
	s_mov_b32 s8, 0
	s_mov_b32 s7, -1
.LBB20_377:
	s_andn2_b32 vcc_lo, exec_lo, s8
	s_cbranch_vccnz .LBB20_385
; %bb.378:
	s_cmp_gt_i32 s6, 14
	s_mov_b32 s8, -1
	s_cbranch_scc0 .LBB20_382
; %bb.379:
	s_cmp_eq_u32 s6, 15
	s_mov_b32 s4, -1
	s_cbranch_scc0 .LBB20_381
; %bb.380:
	v_bfe_u32 v1, v0, 16, 1
	v_cmp_o_f32_e32 vcc_lo, v0, v0
	v_mov_b32_e32 v4, 0x7fc0
	s_mov_b32 s7, -1
	s_mov_b32 s4, 0
	v_add3_u32 v1, v0, v1, 0x7fff
	v_cndmask_b32_sdwa v1, v4, v1, vcc_lo dst_sel:DWORD dst_unused:UNUSED_PAD src0_sel:DWORD src1_sel:WORD_1
	global_store_short v[2:3], v1, off
.LBB20_381:
	s_mov_b32 s8, 0
.LBB20_382:
	s_and_b32 vcc_lo, exec_lo, s8
	s_cbranch_vccz .LBB20_385
; %bb.383:
	s_cmp_eq_u32 s6, 11
	s_mov_b32 s4, -1
	s_cbranch_scc0 .LBB20_385
; %bb.384:
	v_cmp_neq_f32_e32 vcc_lo, 0, v0
	s_mov_b32 s4, 0
	s_mov_b32 s7, -1
	v_cndmask_b32_e64 v1, 0, 1, vcc_lo
	global_store_byte v[2:3], v1, off
.LBB20_385:
	s_mov_b32 s6, 0
.LBB20_386:
	s_and_b32 vcc_lo, exec_lo, s6
	s_cbranch_vccz .LBB20_425
; %bb.387:
	s_and_b32 s5, 0xffff, s5
	s_mov_b32 s6, -1
	s_cmp_lt_i32 s5, 5
	s_cbranch_scc1 .LBB20_408
; %bb.388:
	s_cmp_lt_i32 s5, 8
	s_cbranch_scc1 .LBB20_398
; %bb.389:
	;; [unrolled: 3-line block ×3, first 2 shown]
	s_cmp_gt_i32 s5, 9
	s_cbranch_scc0 .LBB20_392
; %bb.391:
	v_cvt_f64_f32_e32 v[4:5], v0
	v_mov_b32_e32 v6, 0
	s_mov_b32 s6, 0
	v_mov_b32_e32 v7, v6
	global_store_dwordx4 v[2:3], v[4:7], off
.LBB20_392:
	s_andn2_b32 vcc_lo, exec_lo, s6
	s_cbranch_vccnz .LBB20_394
; %bb.393:
	v_mov_b32_e32 v1, 0
	global_store_dwordx2 v[2:3], v[0:1], off
.LBB20_394:
	s_mov_b32 s6, 0
.LBB20_395:
	s_andn2_b32 vcc_lo, exec_lo, s6
	s_cbranch_vccnz .LBB20_397
; %bb.396:
	v_cvt_f16_f32_e32 v1, v0
	v_and_b32_e32 v1, 0xffff, v1
	global_store_dword v[2:3], v1, off
.LBB20_397:
	s_mov_b32 s6, 0
.LBB20_398:
	s_andn2_b32 vcc_lo, exec_lo, s6
	s_cbranch_vccnz .LBB20_407
; %bb.399:
	s_cmp_lt_i32 s5, 6
	s_mov_b32 s6, -1
	s_cbranch_scc1 .LBB20_405
; %bb.400:
	s_cmp_gt_i32 s5, 6
	s_cbranch_scc0 .LBB20_402
; %bb.401:
	v_cvt_f64_f32_e32 v[4:5], v0
	s_mov_b32 s6, 0
	global_store_dwordx2 v[2:3], v[4:5], off
.LBB20_402:
	s_andn2_b32 vcc_lo, exec_lo, s6
	s_cbranch_vccnz .LBB20_404
; %bb.403:
	global_store_dword v[2:3], v0, off
.LBB20_404:
	s_mov_b32 s6, 0
.LBB20_405:
	s_andn2_b32 vcc_lo, exec_lo, s6
	s_cbranch_vccnz .LBB20_407
; %bb.406:
	v_cvt_f16_f32_e32 v1, v0
	global_store_short v[2:3], v1, off
.LBB20_407:
	s_mov_b32 s6, 0
.LBB20_408:
	s_andn2_b32 vcc_lo, exec_lo, s6
	s_cbranch_vccnz .LBB20_424
; %bb.409:
	s_cmp_lt_i32 s5, 2
	s_mov_b32 s6, -1
	s_cbranch_scc1 .LBB20_419
; %bb.410:
	s_cmp_lt_i32 s5, 3
	s_cbranch_scc1 .LBB20_416
; %bb.411:
	s_cmp_gt_i32 s5, 3
	s_cbranch_scc0 .LBB20_413
; %bb.412:
	v_trunc_f32_e32 v1, v0
	s_mov_b32 s6, 0
	v_mul_f32_e64 v4, 0x2f800000, |v1|
	v_floor_f32_e32 v4, v4
	v_fma_f32 v5, 0xcf800000, v4, |v1|
	v_ashrrev_i32_e32 v1, 31, v1
	v_cvt_u32_f32_e32 v4, v4
	v_cvt_u32_f32_e32 v5, v5
	v_xor_b32_e32 v6, v4, v1
	v_xor_b32_e32 v5, v5, v1
	v_sub_co_u32 v4, vcc_lo, v5, v1
	v_sub_co_ci_u32_e64 v5, null, v6, v1, vcc_lo
	global_store_dwordx2 v[2:3], v[4:5], off
.LBB20_413:
	s_andn2_b32 vcc_lo, exec_lo, s6
	s_cbranch_vccnz .LBB20_415
; %bb.414:
	v_cvt_i32_f32_e32 v1, v0
	global_store_dword v[2:3], v1, off
.LBB20_415:
	s_mov_b32 s6, 0
.LBB20_416:
	s_andn2_b32 vcc_lo, exec_lo, s6
	s_cbranch_vccnz .LBB20_418
; %bb.417:
	v_cvt_i32_f32_e32 v1, v0
	global_store_short v[2:3], v1, off
.LBB20_418:
	s_mov_b32 s6, 0
.LBB20_419:
	s_andn2_b32 vcc_lo, exec_lo, s6
	s_cbranch_vccnz .LBB20_424
; %bb.420:
	s_cmp_gt_i32 s5, 0
	s_mov_b32 s5, -1
	s_cbranch_scc0 .LBB20_422
; %bb.421:
	v_cvt_i32_f32_e32 v1, v0
	s_mov_b32 s5, 0
	global_store_byte v[2:3], v1, off
.LBB20_422:
	s_andn2_b32 vcc_lo, exec_lo, s5
	s_cbranch_vccnz .LBB20_424
; %bb.423:
	v_trunc_f32_e32 v0, v0
	v_mul_f32_e64 v1, 0x2f800000, |v0|
	v_floor_f32_e32 v1, v1
	v_fma_f32 v1, 0xcf800000, v1, |v0|
	v_ashrrev_i32_e32 v0, 31, v0
	v_cvt_u32_f32_e32 v1, v1
	v_xor_b32_e32 v1, v1, v0
	v_sub_nc_u32_e32 v0, v1, v0
	global_store_byte v[2:3], v0, off
.LBB20_424:
	s_mov_b32 s7, -1
.LBB20_425:
	s_andn2_b32 vcc_lo, exec_lo, s7
	s_cbranch_vccnz .LBB20_427
; %bb.426:
	v_add_nc_u32_e32 v34, 0x80, v34
	s_mov_b32 s5, -1
	s_branch .LBB20_428
.LBB20_427:
	s_mov_b32 s5, 0
                                        ; implicit-def: $vgpr34
.LBB20_428:
	s_andn2_b32 s6, s51, exec_lo
	s_and_b32 s4, s4, exec_lo
	s_orn2_b32 s7, s5, exec_lo
	s_or_b32 s54, s6, s4
.LBB20_429:
	s_or_b32 exec_lo, exec_lo, s53
	s_mov_b32 s4, 0
	s_mov_b32 s6, 0
                                        ; implicit-def: $sgpr5
                                        ; implicit-def: $vgpr2_vgpr3
                                        ; implicit-def: $vgpr0
	s_and_saveexec_b32 s53, s7
	s_cbranch_execz .LBB20_528
; %bb.430:
	v_cmp_gt_i32_e32 vcc_lo, s46, v34
	s_mov_b32 s7, s54
                                        ; implicit-def: $sgpr5
                                        ; implicit-def: $vgpr2_vgpr3
                                        ; implicit-def: $vgpr0
	s_and_saveexec_b32 s46, vcc_lo
	s_cbranch_execz .LBB20_527
; %bb.431:
	s_andn2_b32 vcc_lo, exec_lo, s42
	s_cbranch_vccnz .LBB20_436
; %bb.432:
	s_andn2_b32 vcc_lo, exec_lo, s48
	s_cbranch_vccnz .LBB20_437
; %bb.433:
	s_add_i32 s47, s47, 1
	s_cmp_eq_u32 s40, 2
	s_cbranch_scc1 .LBB20_438
; %bb.434:
	v_mov_b32_e32 v2, 0
	v_mov_b32_e32 v32, 0
	;; [unrolled: 1-line block ×3, first 2 shown]
	s_and_b32 s6, s47, 28
	s_mov_b32 s7, 0
	s_mov_b64 s[4:5], s[18:19]
.LBB20_435:                             ; =>This Inner Loop Header: Depth=1
	s_clause 0x1
	s_load_dwordx8 s[8:15], s[4:5], 0x4
	s_load_dwordx4 s[64:67], s[4:5], 0x24
	s_load_dwordx8 s[56:63], s[34:35], 0x0
	s_add_u32 s4, s4, 48
	s_addc_u32 s5, s5, 0
	s_add_i32 s7, s7, 4
	s_add_u32 s34, s34, 32
	s_addc_u32 s35, s35, 0
	s_cmp_eq_u32 s6, s7
	s_waitcnt lgkmcnt(0)
	v_mul_hi_u32 v1, s9, v0
	v_add_nc_u32_e32 v1, v0, v1
	v_lshrrev_b32_e32 v1, s10, v1
	v_mul_hi_u32 v3, s12, v1
	v_mul_lo_u32 v5, v1, s8
	v_add_nc_u32_e32 v3, v1, v3
	v_sub_nc_u32_e32 v0, v0, v5
	v_lshrrev_b32_e32 v3, s13, v3
	v_mul_lo_u32 v5, v0, s56
	v_mul_lo_u32 v7, v0, s57
	v_mul_hi_u32 v4, s15, v3
	v_add_nc_u32_e32 v4, v3, v4
	v_lshrrev_b32_e32 v4, s64, v4
	v_mul_hi_u32 v6, s66, v4
	v_mul_lo_u32 v8, v4, s14
	v_add_nc_u32_e32 v0, v4, v6
	v_mul_lo_u32 v6, v3, s11
	v_sub_nc_u32_e32 v3, v3, v8
	v_lshrrev_b32_e32 v0, s67, v0
	v_mul_lo_u32 v8, v3, s60
	v_mul_lo_u32 v3, v3, s61
	v_sub_nc_u32_e32 v1, v1, v6
	v_mul_lo_u32 v9, v0, s65
	v_mul_lo_u32 v6, v1, s58
	;; [unrolled: 1-line block ×3, first 2 shown]
	v_sub_nc_u32_e32 v4, v4, v9
	v_add3_u32 v5, v5, v32, v6
	v_mul_lo_u32 v9, v4, s62
	v_mul_lo_u32 v4, v4, s63
	v_add3_u32 v1, v7, v2, v1
	v_add3_u32 v32, v8, v5, v9
	;; [unrolled: 1-line block ×3, first 2 shown]
	s_cbranch_scc0 .LBB20_435
	s_branch .LBB20_439
.LBB20_436:
	s_mov_b32 s4, -1
                                        ; implicit-def: $vgpr32
                                        ; implicit-def: $vgpr2
	s_branch .LBB20_443
.LBB20_437:
	v_mov_b32_e32 v32, 0
	v_mov_b32_e32 v2, 0
	s_branch .LBB20_442
.LBB20_438:
	v_mov_b32_e32 v32, 0
	v_mov_b32_e32 v2, 0
	;; [unrolled: 1-line block ×3, first 2 shown]
.LBB20_439:
	s_and_b32 s8, s47, 3
	s_cmp_eq_u32 s8, 0
	s_cbranch_scc1 .LBB20_442
; %bb.440:
	s_lshl_b32 s4, s6, 3
	s_mul_i32 s6, s6, 12
	s_add_u32 s4, s18, s4
	s_addc_u32 s5, s19, 0
	s_add_u32 s4, s4, 0xc4
	s_addc_u32 s5, s5, 0
	;; [unrolled: 2-line block ×3, first 2 shown]
.LBB20_441:                             ; =>This Inner Loop Header: Depth=1
	s_clause 0x1
	s_load_dwordx2 s[10:11], s[6:7], 0x4
	s_load_dword s9, s[6:7], 0xc
	s_load_dwordx2 s[12:13], s[4:5], 0x0
	s_add_u32 s6, s6, 12
	s_addc_u32 s7, s7, 0
	s_add_u32 s4, s4, 8
	s_addc_u32 s5, s5, 0
	s_add_i32 s8, s8, -1
	s_cmp_lg_u32 s8, 0
	s_waitcnt lgkmcnt(0)
	v_mul_hi_u32 v1, s11, v0
	v_add_nc_u32_e32 v1, v0, v1
	v_lshrrev_b32_e32 v1, s9, v1
	v_mul_lo_u32 v3, v1, s10
	v_sub_nc_u32_e32 v0, v0, v3
	v_mad_u64_u32 v[32:33], null, v0, s12, v[32:33]
	v_mad_u64_u32 v[2:3], null, v0, s13, v[2:3]
	v_mov_b32_e32 v0, v1
	s_cbranch_scc1 .LBB20_441
.LBB20_442:
	s_mov_b32 s4, 0
.LBB20_443:
	s_andn2_b32 vcc_lo, exec_lo, s4
	s_cbranch_vccnz .LBB20_446
; %bb.444:
	s_waitcnt lgkmcnt(0)
	v_mul_hi_u32 v0, s37, v34
	s_andn2_b32 vcc_lo, exec_lo, s45
	v_add_nc_u32_e32 v0, v34, v0
	v_lshrrev_b32_e32 v0, s38, v0
	v_mul_lo_u32 v1, v0, s36
	v_sub_nc_u32_e32 v1, v34, v1
	v_mul_lo_u32 v32, v1, s24
	v_mul_lo_u32 v2, v1, s25
	s_cbranch_vccnz .LBB20_446
; %bb.445:
	v_mul_hi_u32 v1, s28, v0
	v_add_nc_u32_e32 v1, v0, v1
	v_lshrrev_b32_e32 v1, s29, v1
	v_mul_lo_u32 v1, v1, s39
	v_sub_nc_u32_e32 v0, v0, v1
	v_mad_u64_u32 v[32:33], null, v0, s26, v[32:33]
	v_mad_u64_u32 v[2:3], null, v0, s27, v[2:3]
.LBB20_446:
	s_waitcnt lgkmcnt(0)
	v_mov_b32_e32 v0, s22
	v_mov_b32_e32 v1, s23
	;; [unrolled: 1-line block ×3, first 2 shown]
	s_getpc_b64 s[4:5]
	s_add_u32 s4, s4, _ZN2at6native6invokeIZZZNS0_12_GLOBAL__N_121bessel_j1_kernel_cudaERNS_18TensorIteratorBaseEENKUlvE_clEvENKUlvE0_clEvEUlfE_j15function_traitsIS7_EEENT1_11result_typeERKT_PrKPcPKT0_PKN3c1010ScalarTypeEi@rel32@lo+4
	s_addc_u32 s5, s5, _ZN2at6native6invokeIZZZNS0_12_GLOBAL__N_121bessel_j1_kernel_cudaERNS_18TensorIteratorBaseEENKUlvE_clEvENKUlvE0_clEvEUlfE_j15function_traitsIS7_EEENT1_11result_typeERKT_PrKPcPKT0_PKN3c1010ScalarTypeEi@rel32@hi+12
	s_swappc_b64 s[30:31], s[4:5]
	v_add_co_u32 v2, s4, s20, v32
	v_add_co_ci_u32_e64 v3, null, s21, 0, s4
	s_and_b32 s5, s44, 0xff
	s_cmp_lt_i32 s5, 11
	s_cbranch_scc1 .LBB20_453
; %bb.447:
	s_and_b32 s6, 0xffff, s5
	s_mov_b32 s7, -1
	s_cmp_gt_i32 s6, 25
	s_mov_b32 s4, s54
	s_cbranch_scc0 .LBB20_485
; %bb.448:
	s_cmp_gt_i32 s6, 28
	s_mov_b32 s4, s54
	s_cbranch_scc0 .LBB20_469
; %bb.449:
	;; [unrolled: 4-line block ×4, first 2 shown]
	s_cmp_eq_u32 s6, 46
	s_mov_b32 s4, -1
	s_cbranch_scc0 .LBB20_458
; %bb.452:
	v_bfe_u32 v1, v0, 16, 1
	v_cmp_o_f32_e32 vcc_lo, v0, v0
	v_mov_b32_e32 v4, 0x7fc0
	s_mov_b32 s4, 0
	s_mov_b32 s7, 0
	v_add3_u32 v1, v0, v1, 0x7fff
	v_cndmask_b32_sdwa v1, v4, v1, vcc_lo dst_sel:DWORD dst_unused:UNUSED_PAD src0_sel:DWORD src1_sel:WORD_1
	global_store_dword v[2:3], v1, off
	s_branch .LBB20_459
.LBB20_453:
	s_mov_b32 s8, 0
	s_mov_b32 s7, -1
	s_mov_b32 s4, s54
	s_branch .LBB20_526
.LBB20_454:
	s_andn2_saveexec_b32 s9, s9
	s_cbranch_execz .LBB20_338
.LBB20_455:
	v_add_f32_e64 v1, 0x46000000, |v0|
	s_andn2_b32 s8, s8, exec_lo
	v_and_b32_e32 v1, 0xff, v1
	v_cmp_ne_u32_e32 vcc_lo, 0, v1
	s_and_b32 s10, vcc_lo, exec_lo
	s_or_b32 s8, s8, s10
	s_or_b32 exec_lo, exec_lo, s9
	v_mov_b32_e32 v4, 0
	s_and_saveexec_b32 s9, s8
	s_cbranch_execnz .LBB20_339
	s_branch .LBB20_340
.LBB20_456:
	s_andn2_saveexec_b32 s9, s9
	s_cbranch_execz .LBB20_351
.LBB20_457:
	v_add_f32_e64 v1, 0x42800000, |v0|
	s_andn2_b32 s8, s8, exec_lo
	v_and_b32_e32 v1, 0xff, v1
	v_cmp_ne_u32_e32 vcc_lo, 0, v1
	s_and_b32 s10, vcc_lo, exec_lo
	s_or_b32 s8, s8, s10
	s_or_b32 exec_lo, exec_lo, s9
	v_mov_b32_e32 v4, 0
	s_and_saveexec_b32 s9, s8
	s_cbranch_execnz .LBB20_352
	s_branch .LBB20_353
.LBB20_458:
	s_mov_b32 s7, 0
.LBB20_459:
	s_and_b32 vcc_lo, exec_lo, s7
	s_cbranch_vccz .LBB20_464
; %bb.460:
	s_cmp_eq_u32 s6, 44
	s_mov_b32 s4, -1
	s_cbranch_scc0 .LBB20_464
; %bb.461:
	v_bfe_u32 v4, v0, 23, 8
	v_mov_b32_e32 v1, 0xff
	s_mov_b32 s7, exec_lo
	v_cmpx_ne_u32_e32 0xff, v4
	s_cbranch_execz .LBB20_463
; %bb.462:
	v_and_b32_e32 v1, 0x400000, v0
	v_and_or_b32 v4, 0x3fffff, v0, v4
	v_cmp_ne_u32_e32 vcc_lo, 0, v1
	v_cmp_ne_u32_e64 s4, 0, v4
	v_lshrrev_b32_e32 v1, 23, v0
	s_and_b32 s4, vcc_lo, s4
	v_cndmask_b32_e64 v4, 0, 1, s4
	v_add_nc_u32_e32 v1, v1, v4
.LBB20_463:
	s_or_b32 exec_lo, exec_lo, s7
	s_mov_b32 s4, 0
	global_store_byte v[2:3], v1, off
.LBB20_464:
	s_mov_b32 s7, 0
.LBB20_465:
	s_and_b32 vcc_lo, exec_lo, s7
	s_cbranch_vccz .LBB20_468
; %bb.466:
	s_cmp_eq_u32 s6, 29
	s_mov_b32 s4, -1
	s_cbranch_scc0 .LBB20_468
; %bb.467:
	v_trunc_f32_e32 v1, v0
	s_mov_b32 s4, 0
	s_mov_b32 s7, 0
	v_mul_f32_e32 v4, 0x2f800000, v1
	v_floor_f32_e32 v4, v4
	v_fmamk_f32 v1, v4, 0xcf800000, v1
	v_cvt_u32_f32_e32 v5, v4
	v_cvt_u32_f32_e32 v4, v1
	global_store_dwordx2 v[2:3], v[4:5], off
	s_branch .LBB20_469
.LBB20_468:
	s_mov_b32 s7, 0
.LBB20_469:
	s_and_b32 vcc_lo, exec_lo, s7
	s_cbranch_vccz .LBB20_484
; %bb.470:
	s_cmp_lt_i32 s6, 27
	s_mov_b32 s7, -1
	s_cbranch_scc1 .LBB20_476
; %bb.471:
	v_cvt_u32_f32_e32 v1, v0
	s_cmp_gt_i32 s6, 27
	s_cbranch_scc0 .LBB20_473
; %bb.472:
	s_mov_b32 s7, 0
	global_store_dword v[2:3], v1, off
.LBB20_473:
	s_andn2_b32 vcc_lo, exec_lo, s7
	s_cbranch_vccnz .LBB20_475
; %bb.474:
	global_store_short v[2:3], v1, off
.LBB20_475:
	s_mov_b32 s7, 0
.LBB20_476:
	s_andn2_b32 vcc_lo, exec_lo, s7
	s_cbranch_vccnz .LBB20_484
; %bb.477:
	v_and_b32_e32 v1, 0x7fffffff, v0
	v_mov_b32_e32 v4, 0x80
	s_mov_b32 s7, exec_lo
	v_cmpx_gt_u32_e32 0x43800000, v1
	s_cbranch_execz .LBB20_483
; %bb.478:
	v_cmp_lt_u32_e32 vcc_lo, 0x3bffffff, v1
	s_mov_b32 s8, 0
                                        ; implicit-def: $vgpr1
	s_and_saveexec_b32 s9, vcc_lo
	s_xor_b32 s9, exec_lo, s9
	s_cbranch_execz .LBB20_1121
; %bb.479:
	v_bfe_u32 v1, v0, 20, 1
	s_mov_b32 s8, exec_lo
	v_add3_u32 v1, v0, v1, 0x487ffff
	v_lshrrev_b32_e32 v1, 20, v1
	s_andn2_saveexec_b32 s9, s9
	s_cbranch_execnz .LBB20_1122
.LBB20_480:
	s_or_b32 exec_lo, exec_lo, s9
	v_mov_b32_e32 v4, 0
	s_and_saveexec_b32 s9, s8
.LBB20_481:
	v_lshrrev_b32_e32 v4, 24, v0
	v_and_or_b32 v4, 0x80, v4, v1
.LBB20_482:
	s_or_b32 exec_lo, exec_lo, s9
.LBB20_483:
	s_or_b32 exec_lo, exec_lo, s7
	global_store_byte v[2:3], v4, off
.LBB20_484:
	s_mov_b32 s7, 0
.LBB20_485:
	s_and_b32 vcc_lo, exec_lo, s7
	s_mov_b32 s7, 0
	s_cbranch_vccz .LBB20_525
; %bb.486:
	s_cmp_gt_i32 s6, 22
	s_mov_b32 s8, -1
	s_cbranch_scc0 .LBB20_518
; %bb.487:
	s_cmp_lt_i32 s6, 24
	s_cbranch_scc1 .LBB20_507
; %bb.488:
	s_cmp_gt_i32 s6, 24
	s_cbranch_scc0 .LBB20_496
; %bb.489:
	v_and_b32_e32 v1, 0x7fffffff, v0
	v_mov_b32_e32 v4, 0x80
	s_mov_b32 s8, exec_lo
	v_cmpx_gt_u32_e32 0x47800000, v1
	s_cbranch_execz .LBB20_495
; %bb.490:
	v_cmp_lt_u32_e32 vcc_lo, 0x37ffffff, v1
	s_mov_b32 s9, 0
                                        ; implicit-def: $vgpr1
	s_and_saveexec_b32 s10, vcc_lo
	s_xor_b32 s10, exec_lo, s10
	s_cbranch_execz .LBB20_1125
; %bb.491:
	v_bfe_u32 v1, v0, 21, 1
	s_mov_b32 s9, exec_lo
	v_add3_u32 v1, v0, v1, 0x88fffff
	v_lshrrev_b32_e32 v1, 21, v1
	s_andn2_saveexec_b32 s10, s10
	s_cbranch_execnz .LBB20_1126
.LBB20_492:
	s_or_b32 exec_lo, exec_lo, s10
	v_mov_b32_e32 v4, 0
	s_and_saveexec_b32 s10, s9
.LBB20_493:
	v_lshrrev_b32_e32 v4, 24, v0
	v_and_or_b32 v4, 0x80, v4, v1
.LBB20_494:
	s_or_b32 exec_lo, exec_lo, s10
.LBB20_495:
	s_or_b32 exec_lo, exec_lo, s8
	s_mov_b32 s8, 0
	global_store_byte v[2:3], v4, off
.LBB20_496:
	s_and_b32 vcc_lo, exec_lo, s8
	s_cbranch_vccz .LBB20_506
; %bb.497:
	v_and_b32_e32 v4, 0x7fffffff, v0
	s_mov_b32 s8, exec_lo
                                        ; implicit-def: $vgpr1
	v_cmpx_gt_u32_e32 0x43f00000, v4
	s_xor_b32 s8, exec_lo, s8
	s_cbranch_execz .LBB20_503
; %bb.498:
	s_mov_b32 s9, exec_lo
                                        ; implicit-def: $vgpr1
	v_cmpx_lt_u32_e32 0x3c7fffff, v4
	s_xor_b32 s9, exec_lo, s9
; %bb.499:
	v_bfe_u32 v1, v0, 20, 1
	v_add3_u32 v1, v0, v1, 0x407ffff
	v_and_b32_e32 v4, 0xff00000, v1
	v_lshrrev_b32_e32 v1, 20, v1
	v_cmp_ne_u32_e32 vcc_lo, 0x7f00000, v4
	v_cndmask_b32_e32 v1, 0x7e, v1, vcc_lo
; %bb.500:
	s_andn2_saveexec_b32 s9, s9
; %bb.501:
	v_add_f32_e64 v1, 0x46800000, |v0|
; %bb.502:
	s_or_b32 exec_lo, exec_lo, s9
                                        ; implicit-def: $vgpr4
.LBB20_503:
	s_andn2_saveexec_b32 s8, s8
; %bb.504:
	v_mov_b32_e32 v1, 0x7f
	v_cmp_lt_u32_e32 vcc_lo, 0x7f800000, v4
	v_cndmask_b32_e32 v1, 0x7e, v1, vcc_lo
; %bb.505:
	s_or_b32 exec_lo, exec_lo, s8
	v_lshrrev_b32_e32 v4, 24, v0
	v_and_or_b32 v1, 0x80, v4, v1
	global_store_byte v[2:3], v1, off
.LBB20_506:
	s_mov_b32 s8, 0
.LBB20_507:
	s_andn2_b32 vcc_lo, exec_lo, s8
	s_cbranch_vccnz .LBB20_517
; %bb.508:
	v_and_b32_e32 v4, 0x7fffffff, v0
	s_mov_b32 s8, exec_lo
                                        ; implicit-def: $vgpr1
	v_cmpx_gt_u32_e32 0x47800000, v4
	s_xor_b32 s8, exec_lo, s8
	s_cbranch_execz .LBB20_514
; %bb.509:
	s_mov_b32 s9, exec_lo
                                        ; implicit-def: $vgpr1
	v_cmpx_lt_u32_e32 0x387fffff, v4
	s_xor_b32 s9, exec_lo, s9
; %bb.510:
	v_bfe_u32 v1, v0, 21, 1
	v_add3_u32 v1, v0, v1, 0x80fffff
	v_lshrrev_b32_e32 v1, 21, v1
; %bb.511:
	s_andn2_saveexec_b32 s9, s9
; %bb.512:
	v_add_f32_e64 v1, 0x43000000, |v0|
; %bb.513:
	s_or_b32 exec_lo, exec_lo, s9
                                        ; implicit-def: $vgpr4
.LBB20_514:
	s_andn2_saveexec_b32 s8, s8
; %bb.515:
	v_mov_b32_e32 v1, 0x7f
	v_cmp_lt_u32_e32 vcc_lo, 0x7f800000, v4
	v_cndmask_b32_e32 v1, 0x7c, v1, vcc_lo
; %bb.516:
	s_or_b32 exec_lo, exec_lo, s8
	v_lshrrev_b32_e32 v4, 24, v0
	v_and_or_b32 v1, 0x80, v4, v1
	global_store_byte v[2:3], v1, off
.LBB20_517:
	s_mov_b32 s8, 0
.LBB20_518:
	s_andn2_b32 vcc_lo, exec_lo, s8
	s_mov_b32 s8, 0
	s_cbranch_vccnz .LBB20_526
; %bb.519:
	s_cmp_gt_i32 s6, 14
	s_mov_b32 s8, -1
	s_cbranch_scc0 .LBB20_523
; %bb.520:
	s_cmp_eq_u32 s6, 15
	s_mov_b32 s4, -1
	s_cbranch_scc0 .LBB20_522
; %bb.521:
	v_bfe_u32 v1, v0, 16, 1
	v_cmp_o_f32_e32 vcc_lo, v0, v0
	v_mov_b32_e32 v4, 0x7fc0
	s_mov_b32 s4, 0
	v_add3_u32 v1, v0, v1, 0x7fff
	v_cndmask_b32_sdwa v1, v4, v1, vcc_lo dst_sel:DWORD dst_unused:UNUSED_PAD src0_sel:DWORD src1_sel:WORD_1
	global_store_short v[2:3], v1, off
.LBB20_522:
	s_mov_b32 s8, 0
.LBB20_523:
	s_and_b32 vcc_lo, exec_lo, s8
	s_mov_b32 s8, 0
	s_cbranch_vccz .LBB20_526
; %bb.524:
	s_cmp_lg_u32 s6, 11
	s_mov_b32 s8, -1
	s_cselect_b32 s6, -1, 0
	s_andn2_b32 s4, s4, exec_lo
	s_and_b32 s6, s6, exec_lo
	s_or_b32 s4, s4, s6
	s_branch .LBB20_526
.LBB20_525:
	s_mov_b32 s8, 0
.LBB20_526:
	s_and_b32 s6, s7, exec_lo
	s_andn2_b32 s7, s54, exec_lo
	s_and_b32 s9, s4, exec_lo
	s_and_b32 s4, s8, exec_lo
	s_or_b32 s7, s7, s9
.LBB20_527:
	s_or_b32 exec_lo, exec_lo, s46
	s_andn2_b32 s8, s54, exec_lo
	s_and_b32 s7, s7, exec_lo
	s_and_b32 s6, s6, exec_lo
	;; [unrolled: 1-line block ×3, first 2 shown]
	s_or_b32 s54, s8, s7
.LBB20_528:
	s_or_b32 exec_lo, exec_lo, s53
	s_andn2_b32 s7, s51, exec_lo
	s_and_b32 s8, s54, exec_lo
	s_and_b32 s6, s6, exec_lo
	;; [unrolled: 1-line block ×3, first 2 shown]
	s_or_b32 s51, s7, s8
.LBB20_529:
	s_or_b32 exec_lo, exec_lo, s52
	s_andn2_b32 s7, s49, exec_lo
	s_and_b32 s8, s51, exec_lo
	s_and_b32 s6, s6, exec_lo
	;; [unrolled: 1-line block ×3, first 2 shown]
	s_or_b32 s49, s7, s8
	s_or_b32 exec_lo, exec_lo, s50
	s_mov_b32 s4, 0
	s_and_saveexec_b32 s7, s49
	s_cbranch_execz .LBB20_146
.LBB20_530:
	s_mov_b32 s4, exec_lo
	s_andn2_b32 s51, s51, exec_lo
	s_trap 2
	s_or_b32 exec_lo, exec_lo, s7
	s_and_saveexec_b32 s7, s51
	s_xor_b32 s7, exec_lo, s7
	s_cbranch_execnz .LBB20_147
.LBB20_531:
	s_or_b32 exec_lo, exec_lo, s7
	s_and_saveexec_b32 s7, s6
	s_xor_b32 s6, exec_lo, s7
	s_cbranch_execz .LBB20_569
.LBB20_532:
	s_sext_i32_i16 s8, s5
	s_mov_b32 s7, -1
	s_cmp_lt_i32 s8, 5
	s_cbranch_scc1 .LBB20_553
; %bb.533:
	s_cmp_lt_i32 s8, 8
	s_cbranch_scc1 .LBB20_543
; %bb.534:
	;; [unrolled: 3-line block ×3, first 2 shown]
	s_cmp_gt_i32 s8, 9
	s_cbranch_scc0 .LBB20_537
; %bb.536:
	v_cvt_f64_f32_e32 v[4:5], v0
	v_mov_b32_e32 v6, 0
	s_mov_b32 s7, 0
	v_mov_b32_e32 v7, v6
	global_store_dwordx4 v[2:3], v[4:7], off
.LBB20_537:
	s_andn2_b32 vcc_lo, exec_lo, s7
	s_cbranch_vccnz .LBB20_539
; %bb.538:
	v_mov_b32_e32 v1, 0
	global_store_dwordx2 v[2:3], v[0:1], off
.LBB20_539:
	s_mov_b32 s7, 0
.LBB20_540:
	s_andn2_b32 vcc_lo, exec_lo, s7
	s_cbranch_vccnz .LBB20_542
; %bb.541:
	v_cvt_f16_f32_e32 v1, v0
	v_and_b32_e32 v1, 0xffff, v1
	global_store_dword v[2:3], v1, off
.LBB20_542:
	s_mov_b32 s7, 0
.LBB20_543:
	s_andn2_b32 vcc_lo, exec_lo, s7
	s_cbranch_vccnz .LBB20_552
; %bb.544:
	s_sext_i32_i16 s8, s5
	s_mov_b32 s7, -1
	s_cmp_lt_i32 s8, 6
	s_cbranch_scc1 .LBB20_550
; %bb.545:
	s_cmp_gt_i32 s8, 6
	s_cbranch_scc0 .LBB20_547
; %bb.546:
	v_cvt_f64_f32_e32 v[4:5], v0
	s_mov_b32 s7, 0
	global_store_dwordx2 v[2:3], v[4:5], off
.LBB20_547:
	s_andn2_b32 vcc_lo, exec_lo, s7
	s_cbranch_vccnz .LBB20_549
; %bb.548:
	global_store_dword v[2:3], v0, off
.LBB20_549:
	s_mov_b32 s7, 0
.LBB20_550:
	s_andn2_b32 vcc_lo, exec_lo, s7
	s_cbranch_vccnz .LBB20_552
; %bb.551:
	v_cvt_f16_f32_e32 v1, v0
	global_store_short v[2:3], v1, off
.LBB20_552:
	s_mov_b32 s7, 0
.LBB20_553:
	s_andn2_b32 vcc_lo, exec_lo, s7
	s_cbranch_vccnz .LBB20_569
; %bb.554:
	s_sext_i32_i16 s8, s5
	s_mov_b32 s7, -1
	s_cmp_lt_i32 s8, 2
	s_cbranch_scc1 .LBB20_564
; %bb.555:
	s_cmp_lt_i32 s8, 3
	s_cbranch_scc1 .LBB20_561
; %bb.556:
	s_cmp_gt_i32 s8, 3
	s_cbranch_scc0 .LBB20_558
; %bb.557:
	v_trunc_f32_e32 v1, v0
	s_mov_b32 s7, 0
	v_mul_f32_e64 v4, 0x2f800000, |v1|
	v_floor_f32_e32 v4, v4
	v_fma_f32 v5, 0xcf800000, v4, |v1|
	v_ashrrev_i32_e32 v1, 31, v1
	v_cvt_u32_f32_e32 v4, v4
	v_cvt_u32_f32_e32 v5, v5
	v_xor_b32_e32 v6, v4, v1
	v_xor_b32_e32 v5, v5, v1
	v_sub_co_u32 v4, vcc_lo, v5, v1
	v_sub_co_ci_u32_e64 v5, null, v6, v1, vcc_lo
	global_store_dwordx2 v[2:3], v[4:5], off
.LBB20_558:
	s_andn2_b32 vcc_lo, exec_lo, s7
	s_cbranch_vccnz .LBB20_560
; %bb.559:
	v_cvt_i32_f32_e32 v1, v0
	global_store_dword v[2:3], v1, off
.LBB20_560:
	s_mov_b32 s7, 0
.LBB20_561:
	s_andn2_b32 vcc_lo, exec_lo, s7
	s_cbranch_vccnz .LBB20_563
; %bb.562:
	v_cvt_i32_f32_e32 v1, v0
	global_store_short v[2:3], v1, off
.LBB20_563:
	s_mov_b32 s7, 0
.LBB20_564:
	s_andn2_b32 vcc_lo, exec_lo, s7
	s_cbranch_vccnz .LBB20_569
; %bb.565:
	s_sext_i32_i16 s5, s5
	s_cmp_gt_i32 s5, 0
	s_mov_b32 s5, -1
	s_cbranch_scc0 .LBB20_567
; %bb.566:
	v_cvt_i32_f32_e32 v1, v0
	s_mov_b32 s5, 0
	global_store_byte v[2:3], v1, off
.LBB20_567:
	s_andn2_b32 vcc_lo, exec_lo, s5
	s_cbranch_vccnz .LBB20_569
; %bb.568:
	v_trunc_f32_e32 v0, v0
	v_mul_f32_e64 v1, 0x2f800000, |v0|
	v_floor_f32_e32 v1, v1
	v_fma_f32 v1, 0xcf800000, v1, |v0|
	v_ashrrev_i32_e32 v0, 31, v0
	v_cvt_u32_f32_e32 v1, v1
	v_xor_b32_e32 v1, v1, v0
	v_sub_nc_u32_e32 v0, v1, v0
	global_store_byte v[2:3], v0, off
.LBB20_569:
	s_or_b32 exec_lo, exec_lo, s6
	s_waitcnt lgkmcnt(0)
	s_and_b32 s20, s4, exec_lo
                                        ; implicit-def: $vgpr1
                                        ; implicit-def: $vgpr34
.LBB20_570:
	s_or_saveexec_b32 s21, s43
	s_mov_b32 s4, 0
                                        ; implicit-def: $sgpr5
                                        ; implicit-def: $vgpr2_vgpr3
                                        ; implicit-def: $vgpr0
	s_xor_b32 exec_lo, exec_lo, s21
	s_cbranch_execz .LBB20_1059
; %bb.571:
	v_cndmask_b32_e64 v0, 0, 1, s42
	s_andn2_b32 vcc_lo, exec_lo, s42
	s_cbranch_vccnz .LBB20_577
; %bb.572:
	s_cmp_lg_u32 s33, 0
	s_mov_b32 s8, 0
	s_cbranch_scc0 .LBB20_578
; %bb.573:
	s_min_u32 s10, s40, 15
	s_add_i32 s10, s10, 1
	s_cmp_eq_u32 s40, 2
	s_cbranch_scc1 .LBB20_579
; %bb.574:
	v_mov_b32_e32 v2, 0
	v_mov_b32_e32 v43, 0
	;; [unrolled: 1-line block ×3, first 2 shown]
	s_and_b32 s9, s10, 28
	s_add_u32 s4, s18, 0xc4
	s_addc_u32 s5, s19, 0
	s_mov_b32 s11, 0
	s_mov_b64 s[6:7], s[18:19]
.LBB20_575:                             ; =>This Inner Loop Header: Depth=1
	s_clause 0x1
	s_load_dwordx8 s[24:31], s[6:7], 0x4
	s_load_dwordx4 s[12:15], s[6:7], 0x24
	s_load_dwordx8 s[44:51], s[4:5], 0x0
	s_add_u32 s6, s6, 48
	s_addc_u32 s7, s7, 0
	s_add_i32 s11, s11, 4
	s_add_u32 s4, s4, 32
	s_addc_u32 s5, s5, 0
	s_cmp_lg_u32 s9, s11
	s_waitcnt lgkmcnt(0)
	v_mul_hi_u32 v4, s25, v3
	v_add_nc_u32_e32 v4, v3, v4
	v_lshrrev_b32_e32 v4, s26, v4
	v_mul_hi_u32 v5, s28, v4
	v_mul_lo_u32 v7, v4, s24
	v_add_nc_u32_e32 v5, v4, v5
	v_sub_nc_u32_e32 v3, v3, v7
	v_lshrrev_b32_e32 v5, s29, v5
	v_mul_lo_u32 v7, v3, s44
	v_mul_lo_u32 v9, v3, s45
	v_mul_hi_u32 v6, s31, v5
	v_add_nc_u32_e32 v6, v5, v6
	v_lshrrev_b32_e32 v6, s12, v6
	v_mul_hi_u32 v8, s14, v6
	v_mul_lo_u32 v10, v6, s30
	v_add_nc_u32_e32 v3, v6, v8
	v_mul_lo_u32 v8, v5, s27
	v_sub_nc_u32_e32 v5, v5, v10
	v_lshrrev_b32_e32 v3, s15, v3
	v_mul_lo_u32 v10, v5, s48
	v_mul_lo_u32 v5, v5, s49
	v_sub_nc_u32_e32 v4, v4, v8
	v_mul_lo_u32 v11, v3, s13
	v_mul_lo_u32 v8, v4, s46
	;; [unrolled: 1-line block ×3, first 2 shown]
	v_sub_nc_u32_e32 v6, v6, v11
	v_add3_u32 v7, v7, v43, v8
	v_mul_lo_u32 v11, v6, s50
	v_mul_lo_u32 v6, v6, s51
	v_add3_u32 v2, v9, v2, v4
	v_add3_u32 v43, v10, v7, v11
	;; [unrolled: 1-line block ×3, first 2 shown]
	s_cbranch_scc1 .LBB20_575
; %bb.576:
	s_and_b32 s10, s10, 3
	s_cmp_eq_u32 s10, 0
	s_cbranch_scc0 .LBB20_580
	s_branch .LBB20_582
.LBB20_577:
	s_mov_b32 s8, -1
                                        ; implicit-def: $vgpr43
                                        ; implicit-def: $vgpr2
	s_branch .LBB20_582
.LBB20_578:
	v_mov_b32_e32 v43, 0
	v_mov_b32_e32 v2, 0
	s_branch .LBB20_582
.LBB20_579:
	v_mov_b32_e32 v43, 0
	v_mov_b32_e32 v2, 0
	;; [unrolled: 1-line block ×3, first 2 shown]
	s_mov_b32 s9, 0
	s_and_b32 s10, s10, 3
	s_cmp_eq_u32 s10, 0
	s_cbranch_scc1 .LBB20_582
.LBB20_580:
	s_lshl_b32 s4, s9, 3
	s_mul_i32 s6, s9, 12
	s_add_u32 s4, s18, s4
	s_addc_u32 s5, s19, 0
	s_add_u32 s4, s4, 0xc4
	s_addc_u32 s5, s5, 0
	;; [unrolled: 2-line block ×3, first 2 shown]
	.p2align	6
.LBB20_581:                             ; =>This Inner Loop Header: Depth=1
	s_clause 0x1
	s_load_dwordx2 s[12:13], s[6:7], 0x4
	s_load_dword s9, s[6:7], 0xc
	s_load_dwordx2 s[14:15], s[4:5], 0x0
	s_add_u32 s6, s6, 12
	s_addc_u32 s7, s7, 0
	s_add_u32 s4, s4, 8
	s_addc_u32 s5, s5, 0
	s_add_i32 s10, s10, -1
	s_cmp_lg_u32 s10, 0
	s_waitcnt lgkmcnt(0)
	v_mul_hi_u32 v4, s13, v3
	v_add_nc_u32_e32 v4, v3, v4
	v_lshrrev_b32_e32 v4, s9, v4
	v_mul_lo_u32 v5, v4, s12
	v_sub_nc_u32_e32 v3, v3, v5
	v_mad_u64_u32 v[43:44], null, v3, s14, v[43:44]
	v_mad_u64_u32 v[2:3], null, v3, s15, v[2:3]
	v_mov_b32_e32 v3, v4
	s_cbranch_scc1 .LBB20_581
.LBB20_582:
	s_andn2_b32 vcc_lo, exec_lo, s8
	s_cbranch_vccnz .LBB20_585
; %bb.583:
	s_clause 0x1
	s_load_dwordx4 s[4:7], s[18:19], 0x4
	s_load_dwordx2 s[8:9], s[18:19], 0xc4
	s_cmp_lt_u32 s33, 2
	s_waitcnt lgkmcnt(0)
	v_mul_hi_u32 v2, s5, v34
	v_add_nc_u32_e32 v2, v34, v2
	v_lshrrev_b32_e32 v3, s6, v2
	v_mul_lo_u32 v2, v3, s4
	v_sub_nc_u32_e32 v2, v34, v2
	v_mul_lo_u32 v43, v2, s8
	v_mul_lo_u32 v2, v2, s9
	s_cbranch_scc1 .LBB20_585
; %bb.584:
	s_clause 0x1
	s_load_dwordx4 s[4:7], s[18:19], 0x10
	s_load_dwordx2 s[8:9], s[18:19], 0xcc
	s_waitcnt lgkmcnt(0)
	v_mul_hi_u32 v4, s5, v3
	v_add_nc_u32_e32 v4, v3, v4
	v_lshrrev_b32_e32 v4, s6, v4
	v_mul_lo_u32 v4, v4, s4
	v_sub_nc_u32_e32 v3, v3, v4
	v_mad_u64_u32 v[43:44], null, v3, s8, v[43:44]
	v_mad_u64_u32 v[2:3], null, v3, s9, v[2:3]
.LBB20_585:
	v_cmp_ne_u32_e32 vcc_lo, 1, v0
	v_add_nc_u32_e32 v3, 0x80, v34
	s_cbranch_vccnz .LBB20_591
; %bb.586:
	s_cmp_lg_u32 s33, 0
	s_mov_b32 s8, 0
	s_cbranch_scc0 .LBB20_592
; %bb.587:
	s_min_u32 s10, s40, 15
	s_add_i32 s10, s10, 1
	s_cmp_eq_u32 s40, 2
	s_cbranch_scc1 .LBB20_593
; %bb.588:
	v_mov_b32_e32 v31, 0
	v_mov_b32_e32 v41, 0
	;; [unrolled: 1-line block ×3, first 2 shown]
	s_and_b32 s9, s10, 28
	s_add_u32 s4, s18, 0xc4
	s_addc_u32 s5, s19, 0
	s_mov_b32 s11, 0
	s_mov_b64 s[6:7], s[18:19]
.LBB20_589:                             ; =>This Inner Loop Header: Depth=1
	s_clause 0x1
	s_load_dwordx8 s[24:31], s[6:7], 0x4
	s_load_dwordx4 s[12:15], s[6:7], 0x24
	s_load_dwordx8 s[44:51], s[4:5], 0x0
	s_add_u32 s6, s6, 48
	s_addc_u32 s7, s7, 0
	s_add_i32 s11, s11, 4
	s_add_u32 s4, s4, 32
	s_addc_u32 s5, s5, 0
	s_cmp_lg_u32 s9, s11
	s_waitcnt lgkmcnt(0)
	v_mul_hi_u32 v5, s25, v4
	v_add_nc_u32_e32 v5, v4, v5
	v_lshrrev_b32_e32 v5, s26, v5
	v_mul_hi_u32 v6, s28, v5
	v_mul_lo_u32 v8, v5, s24
	v_add_nc_u32_e32 v6, v5, v6
	v_sub_nc_u32_e32 v4, v4, v8
	v_lshrrev_b32_e32 v6, s29, v6
	v_mul_lo_u32 v8, v4, s44
	v_mul_lo_u32 v10, v4, s45
	v_mul_hi_u32 v7, s31, v6
	v_add_nc_u32_e32 v7, v6, v7
	v_lshrrev_b32_e32 v7, s12, v7
	v_mul_hi_u32 v9, s14, v7
	v_mul_lo_u32 v11, v7, s30
	v_add_nc_u32_e32 v4, v7, v9
	v_mul_lo_u32 v9, v6, s27
	v_sub_nc_u32_e32 v6, v6, v11
	v_lshrrev_b32_e32 v4, s15, v4
	v_mul_lo_u32 v11, v6, s48
	v_mul_lo_u32 v6, v6, s49
	v_sub_nc_u32_e32 v5, v5, v9
	v_mul_lo_u32 v12, v4, s13
	v_mul_lo_u32 v9, v5, s46
	;; [unrolled: 1-line block ×3, first 2 shown]
	v_sub_nc_u32_e32 v7, v7, v12
	v_add3_u32 v8, v8, v41, v9
	v_mul_lo_u32 v12, v7, s50
	v_mul_lo_u32 v7, v7, s51
	v_add3_u32 v5, v10, v31, v5
	v_add3_u32 v41, v11, v8, v12
	;; [unrolled: 1-line block ×3, first 2 shown]
	s_cbranch_scc1 .LBB20_589
; %bb.590:
	s_and_b32 s10, s10, 3
	s_cmp_eq_u32 s10, 0
	s_cbranch_scc0 .LBB20_594
	s_branch .LBB20_596
.LBB20_591:
	s_mov_b32 s8, -1
                                        ; implicit-def: $vgpr41
                                        ; implicit-def: $vgpr31
	s_branch .LBB20_596
.LBB20_592:
	v_mov_b32_e32 v41, 0
	v_mov_b32_e32 v31, 0
	s_branch .LBB20_596
.LBB20_593:
	v_mov_b32_e32 v41, 0
	v_mov_b32_e32 v31, 0
	;; [unrolled: 1-line block ×3, first 2 shown]
	s_mov_b32 s9, 0
	s_and_b32 s10, s10, 3
	s_cmp_eq_u32 s10, 0
	s_cbranch_scc1 .LBB20_596
.LBB20_594:
	s_lshl_b32 s4, s9, 3
	s_mul_i32 s6, s9, 12
	s_add_u32 s4, s18, s4
	s_addc_u32 s5, s19, 0
	s_add_u32 s4, s4, 0xc4
	s_addc_u32 s5, s5, 0
	;; [unrolled: 2-line block ×3, first 2 shown]
	.p2align	6
.LBB20_595:                             ; =>This Inner Loop Header: Depth=1
	s_clause 0x1
	s_load_dwordx2 s[12:13], s[6:7], 0x4
	s_load_dword s9, s[6:7], 0xc
	s_load_dwordx2 s[14:15], s[4:5], 0x0
	s_add_u32 s6, s6, 12
	s_addc_u32 s7, s7, 0
	s_add_u32 s4, s4, 8
	s_addc_u32 s5, s5, 0
	s_add_i32 s10, s10, -1
	s_cmp_lg_u32 s10, 0
	s_waitcnt lgkmcnt(0)
	v_mul_hi_u32 v5, s13, v4
	v_add_nc_u32_e32 v5, v4, v5
	v_lshrrev_b32_e32 v5, s9, v5
	v_mul_lo_u32 v6, v5, s12
	v_sub_nc_u32_e32 v4, v4, v6
	v_mad_u64_u32 v[41:42], null, v4, s14, v[41:42]
	v_mad_u64_u32 v[31:32], null, v4, s15, v[31:32]
	v_mov_b32_e32 v4, v5
	s_cbranch_scc1 .LBB20_595
.LBB20_596:
	s_andn2_b32 vcc_lo, exec_lo, s8
	s_cbranch_vccnz .LBB20_599
; %bb.597:
	s_clause 0x1
	s_load_dwordx4 s[4:7], s[18:19], 0x4
	s_load_dwordx2 s[8:9], s[18:19], 0xc4
	s_cmp_lt_u32 s33, 2
	s_waitcnt lgkmcnt(0)
	v_mul_hi_u32 v4, s5, v3
	v_add_nc_u32_e32 v4, v3, v4
	v_lshrrev_b32_e32 v4, s6, v4
	v_mul_lo_u32 v5, v4, s4
	v_sub_nc_u32_e32 v3, v3, v5
	v_mul_lo_u32 v41, v3, s8
	v_mul_lo_u32 v31, v3, s9
	s_cbranch_scc1 .LBB20_599
; %bb.598:
	s_clause 0x1
	s_load_dwordx4 s[4:7], s[18:19], 0x10
	s_load_dwordx2 s[8:9], s[18:19], 0xcc
	s_waitcnt lgkmcnt(0)
	v_mul_hi_u32 v3, s5, v4
	v_add_nc_u32_e32 v3, v4, v3
	v_lshrrev_b32_e32 v3, s6, v3
	v_mul_lo_u32 v3, v3, s4
	v_sub_nc_u32_e32 v3, v4, v3
	v_mad_u64_u32 v[41:42], null, v3, s8, v[41:42]
	v_mad_u64_u32 v[31:32], null, v3, s9, v[31:32]
.LBB20_599:
	v_cmp_ne_u32_e32 vcc_lo, 1, v0
	v_add_nc_u32_e32 v3, 0x100, v34
	s_cbranch_vccnz .LBB20_605
; %bb.600:
	s_cmp_lg_u32 s33, 0
	s_mov_b32 s8, 0
	s_cbranch_scc0 .LBB20_606
; %bb.601:
	s_min_u32 s10, s40, 15
	s_add_i32 s10, s10, 1
	s_cmp_eq_u32 s40, 2
	s_cbranch_scc1 .LBB20_607
; %bb.602:
	v_mov_b32_e32 v34, 0
	v_mov_b32_e32 v39, 0
	;; [unrolled: 1-line block ×3, first 2 shown]
	s_and_b32 s9, s10, 28
	s_add_u32 s4, s18, 0xc4
	s_addc_u32 s5, s19, 0
	s_mov_b32 s11, 0
	s_mov_b64 s[6:7], s[18:19]
.LBB20_603:                             ; =>This Inner Loop Header: Depth=1
	s_clause 0x1
	s_load_dwordx8 s[24:31], s[6:7], 0x4
	s_load_dwordx4 s[12:15], s[6:7], 0x24
	s_load_dwordx8 s[44:51], s[4:5], 0x0
	s_add_u32 s6, s6, 48
	s_addc_u32 s7, s7, 0
	s_add_i32 s11, s11, 4
	s_add_u32 s4, s4, 32
	s_addc_u32 s5, s5, 0
	s_cmp_lg_u32 s9, s11
	s_waitcnt lgkmcnt(0)
	v_mul_hi_u32 v5, s25, v4
	v_add_nc_u32_e32 v5, v4, v5
	v_lshrrev_b32_e32 v5, s26, v5
	v_mul_hi_u32 v6, s28, v5
	v_mul_lo_u32 v8, v5, s24
	v_add_nc_u32_e32 v6, v5, v6
	v_sub_nc_u32_e32 v4, v4, v8
	v_lshrrev_b32_e32 v6, s29, v6
	v_mul_lo_u32 v8, v4, s44
	v_mul_lo_u32 v10, v4, s45
	v_mul_hi_u32 v7, s31, v6
	v_add_nc_u32_e32 v7, v6, v7
	v_lshrrev_b32_e32 v7, s12, v7
	v_mul_hi_u32 v9, s14, v7
	v_mul_lo_u32 v11, v7, s30
	v_add_nc_u32_e32 v4, v7, v9
	v_mul_lo_u32 v9, v6, s27
	v_sub_nc_u32_e32 v6, v6, v11
	v_lshrrev_b32_e32 v4, s15, v4
	v_mul_lo_u32 v11, v6, s48
	v_mul_lo_u32 v6, v6, s49
	v_sub_nc_u32_e32 v5, v5, v9
	v_mul_lo_u32 v12, v4, s13
	v_mul_lo_u32 v9, v5, s46
	;; [unrolled: 1-line block ×3, first 2 shown]
	v_sub_nc_u32_e32 v7, v7, v12
	v_add3_u32 v8, v8, v39, v9
	v_mul_lo_u32 v12, v7, s50
	v_mul_lo_u32 v7, v7, s51
	v_add3_u32 v5, v10, v34, v5
	v_add3_u32 v39, v11, v8, v12
	;; [unrolled: 1-line block ×3, first 2 shown]
	s_cbranch_scc1 .LBB20_603
; %bb.604:
	s_and_b32 s10, s10, 3
	s_cmp_eq_u32 s10, 0
	s_cbranch_scc0 .LBB20_608
	s_branch .LBB20_610
.LBB20_605:
	s_mov_b32 s8, -1
                                        ; implicit-def: $vgpr39
                                        ; implicit-def: $vgpr34
	s_branch .LBB20_610
.LBB20_606:
	v_mov_b32_e32 v39, 0
	v_mov_b32_e32 v34, 0
	s_branch .LBB20_610
.LBB20_607:
	v_mov_b32_e32 v39, 0
	v_mov_b32_e32 v34, 0
	;; [unrolled: 1-line block ×3, first 2 shown]
	s_mov_b32 s9, 0
	s_and_b32 s10, s10, 3
	s_cmp_eq_u32 s10, 0
	s_cbranch_scc1 .LBB20_610
.LBB20_608:
	s_lshl_b32 s4, s9, 3
	s_mul_i32 s6, s9, 12
	s_add_u32 s4, s18, s4
	s_addc_u32 s5, s19, 0
	s_add_u32 s4, s4, 0xc4
	s_addc_u32 s5, s5, 0
	;; [unrolled: 2-line block ×3, first 2 shown]
	.p2align	6
.LBB20_609:                             ; =>This Inner Loop Header: Depth=1
	s_clause 0x1
	s_load_dwordx2 s[12:13], s[6:7], 0x4
	s_load_dword s9, s[6:7], 0xc
	s_load_dwordx2 s[14:15], s[4:5], 0x0
	s_add_u32 s6, s6, 12
	s_addc_u32 s7, s7, 0
	s_add_u32 s4, s4, 8
	s_addc_u32 s5, s5, 0
	s_add_i32 s10, s10, -1
	s_cmp_lg_u32 s10, 0
	s_waitcnt lgkmcnt(0)
	v_mul_hi_u32 v5, s13, v4
	v_add_nc_u32_e32 v5, v4, v5
	v_lshrrev_b32_e32 v5, s9, v5
	v_mul_lo_u32 v6, v5, s12
	v_sub_nc_u32_e32 v4, v4, v6
	v_mad_u64_u32 v[39:40], null, v4, s14, v[39:40]
	v_mad_u64_u32 v[34:35], null, v4, s15, v[34:35]
	v_mov_b32_e32 v4, v5
	s_cbranch_scc1 .LBB20_609
.LBB20_610:
	s_andn2_b32 vcc_lo, exec_lo, s8
	s_cbranch_vccnz .LBB20_613
; %bb.611:
	s_clause 0x1
	s_load_dwordx4 s[4:7], s[18:19], 0x4
	s_load_dwordx2 s[8:9], s[18:19], 0xc4
	s_cmp_lt_u32 s33, 2
	s_waitcnt lgkmcnt(0)
	v_mul_hi_u32 v4, s5, v3
	v_add_nc_u32_e32 v4, v3, v4
	v_lshrrev_b32_e32 v4, s6, v4
	v_mul_lo_u32 v5, v4, s4
	v_sub_nc_u32_e32 v3, v3, v5
	v_mul_lo_u32 v39, v3, s8
	v_mul_lo_u32 v34, v3, s9
	s_cbranch_scc1 .LBB20_613
; %bb.612:
	s_clause 0x1
	s_load_dwordx4 s[4:7], s[18:19], 0x10
	s_load_dwordx2 s[8:9], s[18:19], 0xcc
	s_waitcnt lgkmcnt(0)
	v_mul_hi_u32 v3, s5, v4
	v_add_nc_u32_e32 v3, v4, v3
	v_lshrrev_b32_e32 v3, s6, v3
	v_mul_lo_u32 v3, v3, s4
	v_sub_nc_u32_e32 v3, v4, v3
	v_mad_u64_u32 v[39:40], null, v3, s8, v[39:40]
	v_mad_u64_u32 v[34:35], null, v3, s9, v[34:35]
.LBB20_613:
	v_cmp_ne_u32_e32 vcc_lo, 1, v0
	s_cbranch_vccnz .LBB20_619
; %bb.614:
	s_cmp_lg_u32 s33, 0
	s_mov_b32 s8, 0
	s_cbranch_scc0 .LBB20_620
; %bb.615:
	s_min_u32 s10, s40, 15
	s_add_i32 s10, s10, 1
	s_cmp_eq_u32 s40, 2
	s_cbranch_scc1 .LBB20_621
; %bb.616:
	v_mov_b32_e32 v35, 0
	v_mov_b32_e32 v37, 0
	;; [unrolled: 1-line block ×3, first 2 shown]
	s_and_b32 s9, s10, 28
	s_add_u32 s4, s18, 0xc4
	s_addc_u32 s5, s19, 0
	s_mov_b32 s11, 0
	s_mov_b64 s[6:7], s[18:19]
.LBB20_617:                             ; =>This Inner Loop Header: Depth=1
	s_clause 0x1
	s_load_dwordx8 s[24:31], s[6:7], 0x4
	s_load_dwordx4 s[12:15], s[6:7], 0x24
	s_load_dwordx8 s[36:43], s[4:5], 0x0
	s_add_u32 s6, s6, 48
	s_addc_u32 s7, s7, 0
	s_add_i32 s11, s11, 4
	s_add_u32 s4, s4, 32
	s_addc_u32 s5, s5, 0
	s_cmp_lg_u32 s9, s11
	s_waitcnt lgkmcnt(0)
	v_mul_hi_u32 v3, s25, v0
	v_add_nc_u32_e32 v3, v0, v3
	v_lshrrev_b32_e32 v3, s26, v3
	v_mul_hi_u32 v4, s28, v3
	v_mul_lo_u32 v6, v3, s24
	v_add_nc_u32_e32 v4, v3, v4
	v_sub_nc_u32_e32 v0, v0, v6
	v_lshrrev_b32_e32 v4, s29, v4
	v_mul_lo_u32 v6, v0, s36
	v_mul_lo_u32 v8, v0, s37
	v_mul_hi_u32 v5, s31, v4
	v_add_nc_u32_e32 v5, v4, v5
	v_lshrrev_b32_e32 v5, s12, v5
	v_mul_hi_u32 v7, s14, v5
	v_mul_lo_u32 v9, v5, s30
	v_add_nc_u32_e32 v0, v5, v7
	v_mul_lo_u32 v7, v4, s27
	v_sub_nc_u32_e32 v4, v4, v9
	v_lshrrev_b32_e32 v0, s15, v0
	v_mul_lo_u32 v9, v4, s40
	v_mul_lo_u32 v4, v4, s41
	v_sub_nc_u32_e32 v3, v3, v7
	v_mul_lo_u32 v10, v0, s13
	v_mul_lo_u32 v7, v3, s38
	v_mul_lo_u32 v3, v3, s39
	v_sub_nc_u32_e32 v5, v5, v10
	v_add3_u32 v6, v6, v37, v7
	v_mul_lo_u32 v10, v5, s42
	v_mul_lo_u32 v5, v5, s43
	v_add3_u32 v3, v8, v35, v3
	v_add3_u32 v37, v9, v6, v10
	;; [unrolled: 1-line block ×3, first 2 shown]
	s_cbranch_scc1 .LBB20_617
; %bb.618:
	s_and_b32 s10, s10, 3
	s_cmp_eq_u32 s10, 0
	s_cbranch_scc0 .LBB20_622
	s_branch .LBB20_624
.LBB20_619:
	s_mov_b32 s8, -1
                                        ; implicit-def: $vgpr37
                                        ; implicit-def: $vgpr35
	s_branch .LBB20_624
.LBB20_620:
	v_mov_b32_e32 v37, 0
	v_mov_b32_e32 v35, 0
	s_branch .LBB20_624
.LBB20_621:
	v_mov_b32_e32 v37, 0
	v_mov_b32_e32 v35, 0
	;; [unrolled: 1-line block ×3, first 2 shown]
	s_mov_b32 s9, 0
	s_and_b32 s10, s10, 3
	s_cmp_eq_u32 s10, 0
	s_cbranch_scc1 .LBB20_624
.LBB20_622:
	s_lshl_b32 s4, s9, 3
	s_mul_i32 s6, s9, 12
	s_add_u32 s4, s18, s4
	s_addc_u32 s5, s19, 0
	s_add_u32 s4, s4, 0xc4
	s_addc_u32 s5, s5, 0
	;; [unrolled: 2-line block ×3, first 2 shown]
	.p2align	6
.LBB20_623:                             ; =>This Inner Loop Header: Depth=1
	s_clause 0x1
	s_load_dwordx2 s[12:13], s[6:7], 0x4
	s_load_dword s9, s[6:7], 0xc
	s_load_dwordx2 s[14:15], s[4:5], 0x0
	s_add_u32 s6, s6, 12
	s_addc_u32 s7, s7, 0
	s_add_u32 s4, s4, 8
	s_addc_u32 s5, s5, 0
	s_add_i32 s10, s10, -1
	s_cmp_lg_u32 s10, 0
	s_waitcnt lgkmcnt(0)
	v_mul_hi_u32 v3, s13, v0
	v_add_nc_u32_e32 v3, v0, v3
	v_lshrrev_b32_e32 v3, s9, v3
	v_mul_lo_u32 v4, v3, s12
	v_sub_nc_u32_e32 v0, v0, v4
	v_mad_u64_u32 v[37:38], null, v0, s14, v[37:38]
	v_mad_u64_u32 v[35:36], null, v0, s15, v[35:36]
	v_mov_b32_e32 v0, v3
	s_cbranch_scc1 .LBB20_623
.LBB20_624:
	s_andn2_b32 vcc_lo, exec_lo, s8
	s_cbranch_vccnz .LBB20_627
; %bb.625:
	s_clause 0x1
	s_load_dwordx4 s[4:7], s[18:19], 0x4
	s_load_dwordx2 s[8:9], s[18:19], 0xc4
	s_cmp_lt_u32 s33, 2
	s_waitcnt lgkmcnt(0)
	v_mul_hi_u32 v0, s5, v1
	v_add_nc_u32_e32 v0, v1, v0
	v_lshrrev_b32_e32 v0, s6, v0
	v_mul_lo_u32 v3, v0, s4
	v_sub_nc_u32_e32 v1, v1, v3
	v_mul_lo_u32 v37, v1, s8
	v_mul_lo_u32 v35, v1, s9
	s_cbranch_scc1 .LBB20_627
; %bb.626:
	s_clause 0x1
	s_load_dwordx4 s[4:7], s[18:19], 0x10
	s_load_dwordx2 s[8:9], s[18:19], 0xcc
	s_waitcnt lgkmcnt(0)
	v_mul_hi_u32 v1, s5, v0
	v_add_nc_u32_e32 v1, v0, v1
	v_lshrrev_b32_e32 v1, s6, v1
	v_mul_lo_u32 v1, v1, s4
	v_sub_nc_u32_e32 v0, v0, v1
	v_mad_u64_u32 v[37:38], null, v0, s8, v[37:38]
	v_mad_u64_u32 v[35:36], null, v0, s9, v[35:36]
.LBB20_627:
	s_clause 0x1
	s_load_dword s22, s[16:17], 0x160
	s_load_dwordx4 s[16:19], s[18:19], 0x148
	s_getpc_b64 s[24:25]
	s_add_u32 s24, s24, _ZN2at6native6invokeIZZZNS0_12_GLOBAL__N_121bessel_j1_kernel_cudaERNS_18TensorIteratorBaseEENKUlvE_clEvENKUlvE0_clEvEUlfE_j15function_traitsIS7_EEENT1_11result_typeERKT_PrKPcPKT0_PKN3c1010ScalarTypeEi@rel32@lo+4
	s_addc_u32 s25, s25, _ZN2at6native6invokeIZZZNS0_12_GLOBAL__N_121bessel_j1_kernel_cudaERNS_18TensorIteratorBaseEENKUlvE_clEvENKUlvE0_clEvEUlfE_j15function_traitsIS7_EEENT1_11result_typeERKT_PrKPcPKT0_PKN3c1010ScalarTypeEi@rel32@hi+12
	s_waitcnt lgkmcnt(0)
	s_lshr_b32 s23, s22, 16
	v_mov_b32_e32 v0, s18
	v_mov_b32_e32 v1, s19
	v_mov_b32_e32 v3, s23
	s_swappc_b64 s[30:31], s[24:25]
	v_mov_b32_e32 v33, v0
	v_mov_b32_e32 v0, s18
	v_mov_b32_e32 v1, s19
	v_mov_b32_e32 v2, v31
	v_mov_b32_e32 v3, s23
	s_swappc_b64 s[30:31], s[24:25]
	v_mov_b32_e32 v32, v0
	v_mov_b32_e32 v0, s18
	;; [unrolled: 6-line block ×3, first 2 shown]
	v_mov_b32_e32 v1, s19
	v_mov_b32_e32 v2, v35
	;; [unrolled: 1-line block ×3, first 2 shown]
	s_swappc_b64 s[30:31], s[24:25]
	v_add_co_u32 v1, s4, s16, v43
	v_add_co_ci_u32_e64 v2, null, s17, 0, s4
	s_bfe_u32 s5, s22, 0x80008
	s_cmp_lt_i32 s5, 11
	s_cbranch_scc1 .LBB20_706
; %bb.628:
	s_and_b32 s6, 0xffff, s5
	s_mov_b32 s9, -1
	s_mov_b32 s7, 0
	s_cmp_gt_i32 s6, 25
	s_mov_b32 s8, 0
	s_mov_b32 s4, 0
	s_cbranch_scc0 .LBB20_661
; %bb.629:
	s_cmp_gt_i32 s6, 28
	s_cbranch_scc0 .LBB20_644
; %bb.630:
	s_cmp_gt_i32 s6, 43
	;; [unrolled: 3-line block ×3, first 2 shown]
	s_cbranch_scc0 .LBB20_634
; %bb.632:
	s_mov_b32 s4, -1
	s_mov_b32 s9, 0
	s_cmp_eq_u32 s6, 46
	s_cbranch_scc0 .LBB20_634
; %bb.633:
	v_bfe_u32 v3, v33, 16, 1
	v_cmp_o_f32_e32 vcc_lo, v33, v33
	v_mov_b32_e32 v4, 0x7fc0
	s_mov_b32 s4, 0
	s_mov_b32 s8, -1
	v_add3_u32 v3, v33, v3, 0x7fff
	v_cndmask_b32_sdwa v3, v4, v3, vcc_lo dst_sel:DWORD dst_unused:UNUSED_PAD src0_sel:DWORD src1_sel:WORD_1
	global_store_dword v[1:2], v3, off
.LBB20_634:
	s_and_b32 vcc_lo, exec_lo, s9
	s_cbranch_vccz .LBB20_639
; %bb.635:
	s_cmp_eq_u32 s6, 44
	s_mov_b32 s4, -1
	s_cbranch_scc0 .LBB20_639
; %bb.636:
	v_bfe_u32 v4, v33, 23, 8
	v_mov_b32_e32 v3, 0xff
	s_mov_b32 s8, exec_lo
	v_cmpx_ne_u32_e32 0xff, v4
	s_cbranch_execz .LBB20_638
; %bb.637:
	v_and_b32_e32 v3, 0x400000, v33
	v_and_or_b32 v4, 0x3fffff, v33, v4
	v_cmp_ne_u32_e32 vcc_lo, 0, v3
	v_cmp_ne_u32_e64 s4, 0, v4
	v_lshrrev_b32_e32 v3, 23, v33
	s_and_b32 s4, vcc_lo, s4
	v_cndmask_b32_e64 v4, 0, 1, s4
	v_add_nc_u32_e32 v3, v3, v4
.LBB20_638:
	s_or_b32 exec_lo, exec_lo, s8
	s_mov_b32 s4, 0
	s_mov_b32 s8, -1
	global_store_byte v[1:2], v3, off
.LBB20_639:
	s_mov_b32 s9, 0
.LBB20_640:
	s_and_b32 vcc_lo, exec_lo, s9
	s_cbranch_vccz .LBB20_643
; %bb.641:
	s_cmp_eq_u32 s6, 29
	s_mov_b32 s4, -1
	s_cbranch_scc0 .LBB20_643
; %bb.642:
	v_trunc_f32_e32 v3, v33
	s_mov_b32 s4, 0
	s_mov_b32 s8, -1
	v_mul_f32_e32 v4, 0x2f800000, v3
	v_floor_f32_e32 v4, v4
	v_fmamk_f32 v3, v4, 0xcf800000, v3
	v_cvt_u32_f32_e32 v4, v4
	v_cvt_u32_f32_e32 v3, v3
	global_store_dwordx2 v[1:2], v[3:4], off
.LBB20_643:
	s_mov_b32 s9, 0
.LBB20_644:
	s_and_b32 vcc_lo, exec_lo, s9
	s_cbranch_vccz .LBB20_660
; %bb.645:
	s_cmp_lt_i32 s6, 27
	s_mov_b32 s8, -1
	s_cbranch_scc1 .LBB20_651
; %bb.646:
	s_cmp_gt_i32 s6, 27
	s_cbranch_scc0 .LBB20_648
; %bb.647:
	v_cvt_u32_f32_e32 v3, v33
	s_mov_b32 s8, 0
	global_store_dword v[1:2], v3, off
.LBB20_648:
	s_andn2_b32 vcc_lo, exec_lo, s8
	s_cbranch_vccnz .LBB20_650
; %bb.649:
	v_cvt_u32_f32_e32 v3, v33
	global_store_short v[1:2], v3, off
.LBB20_650:
	s_mov_b32 s8, 0
.LBB20_651:
	s_andn2_b32 vcc_lo, exec_lo, s8
	s_cbranch_vccnz .LBB20_659
; %bb.652:
	v_and_b32_e32 v3, 0x7fffffff, v33
	v_mov_b32_e32 v4, 0x80
	s_mov_b32 s8, exec_lo
	v_cmpx_gt_u32_e32 0x43800000, v3
	s_cbranch_execz .LBB20_658
; %bb.653:
	v_cmp_lt_u32_e32 vcc_lo, 0x3bffffff, v3
	s_mov_b32 s9, 0
                                        ; implicit-def: $vgpr3
	s_and_saveexec_b32 s10, vcc_lo
	s_xor_b32 s10, exec_lo, s10
	s_cbranch_execz .LBB20_1103
; %bb.654:
	v_bfe_u32 v3, v33, 20, 1
	s_mov_b32 s9, exec_lo
	v_add3_u32 v3, v33, v3, 0x487ffff
	v_lshrrev_b32_e32 v3, 20, v3
	s_andn2_saveexec_b32 s10, s10
	s_cbranch_execnz .LBB20_1104
.LBB20_655:
	s_or_b32 exec_lo, exec_lo, s10
	v_mov_b32_e32 v4, 0
	s_and_saveexec_b32 s10, s9
.LBB20_656:
	v_lshrrev_b32_e32 v4, 24, v33
	v_and_or_b32 v4, 0x80, v4, v3
.LBB20_657:
	s_or_b32 exec_lo, exec_lo, s10
.LBB20_658:
	s_or_b32 exec_lo, exec_lo, s8
	global_store_byte v[1:2], v4, off
.LBB20_659:
	s_mov_b32 s8, -1
.LBB20_660:
	s_mov_b32 s9, 0
.LBB20_661:
	s_and_b32 vcc_lo, exec_lo, s9
	s_cbranch_vccz .LBB20_701
; %bb.662:
	s_cmp_gt_i32 s6, 22
	s_mov_b32 s7, -1
	s_cbranch_scc0 .LBB20_694
; %bb.663:
	s_cmp_lt_i32 s6, 24
	s_cbranch_scc1 .LBB20_683
; %bb.664:
	s_cmp_gt_i32 s6, 24
	s_cbranch_scc0 .LBB20_672
; %bb.665:
	v_and_b32_e32 v3, 0x7fffffff, v33
	v_mov_b32_e32 v4, 0x80
	s_mov_b32 s7, exec_lo
	v_cmpx_gt_u32_e32 0x47800000, v3
	s_cbranch_execz .LBB20_671
; %bb.666:
	v_cmp_lt_u32_e32 vcc_lo, 0x37ffffff, v3
	s_mov_b32 s8, 0
                                        ; implicit-def: $vgpr3
	s_and_saveexec_b32 s9, vcc_lo
	s_xor_b32 s9, exec_lo, s9
	s_cbranch_execz .LBB20_1106
; %bb.667:
	v_bfe_u32 v3, v33, 21, 1
	s_mov_b32 s8, exec_lo
	v_add3_u32 v3, v33, v3, 0x88fffff
	v_lshrrev_b32_e32 v3, 21, v3
	s_andn2_saveexec_b32 s9, s9
	s_cbranch_execnz .LBB20_1107
.LBB20_668:
	s_or_b32 exec_lo, exec_lo, s9
	v_mov_b32_e32 v4, 0
	s_and_saveexec_b32 s9, s8
.LBB20_669:
	v_lshrrev_b32_e32 v4, 24, v33
	v_and_or_b32 v4, 0x80, v4, v3
.LBB20_670:
	s_or_b32 exec_lo, exec_lo, s9
.LBB20_671:
	s_or_b32 exec_lo, exec_lo, s7
	s_mov_b32 s7, 0
	global_store_byte v[1:2], v4, off
.LBB20_672:
	s_and_b32 vcc_lo, exec_lo, s7
	s_cbranch_vccz .LBB20_682
; %bb.673:
	v_and_b32_e32 v4, 0x7fffffff, v33
	s_mov_b32 s7, exec_lo
                                        ; implicit-def: $vgpr3
	v_cmpx_gt_u32_e32 0x43f00000, v4
	s_xor_b32 s7, exec_lo, s7
	s_cbranch_execz .LBB20_679
; %bb.674:
	s_mov_b32 s8, exec_lo
                                        ; implicit-def: $vgpr3
	v_cmpx_lt_u32_e32 0x3c7fffff, v4
	s_xor_b32 s8, exec_lo, s8
; %bb.675:
	v_bfe_u32 v3, v33, 20, 1
	v_add3_u32 v3, v33, v3, 0x407ffff
	v_and_b32_e32 v4, 0xff00000, v3
	v_lshrrev_b32_e32 v3, 20, v3
	v_cmp_ne_u32_e32 vcc_lo, 0x7f00000, v4
	v_cndmask_b32_e32 v3, 0x7e, v3, vcc_lo
; %bb.676:
	s_andn2_saveexec_b32 s8, s8
; %bb.677:
	v_add_f32_e64 v3, 0x46800000, |v33|
; %bb.678:
	s_or_b32 exec_lo, exec_lo, s8
                                        ; implicit-def: $vgpr4
.LBB20_679:
	s_andn2_saveexec_b32 s7, s7
; %bb.680:
	v_mov_b32_e32 v3, 0x7f
	v_cmp_lt_u32_e32 vcc_lo, 0x7f800000, v4
	v_cndmask_b32_e32 v3, 0x7e, v3, vcc_lo
; %bb.681:
	s_or_b32 exec_lo, exec_lo, s7
	v_lshrrev_b32_e32 v4, 24, v33
	v_and_or_b32 v3, 0x80, v4, v3
	global_store_byte v[1:2], v3, off
.LBB20_682:
	s_mov_b32 s7, 0
.LBB20_683:
	s_andn2_b32 vcc_lo, exec_lo, s7
	s_cbranch_vccnz .LBB20_693
; %bb.684:
	v_and_b32_e32 v4, 0x7fffffff, v33
	s_mov_b32 s7, exec_lo
                                        ; implicit-def: $vgpr3
	v_cmpx_gt_u32_e32 0x47800000, v4
	s_xor_b32 s7, exec_lo, s7
	s_cbranch_execz .LBB20_690
; %bb.685:
	s_mov_b32 s8, exec_lo
                                        ; implicit-def: $vgpr3
	v_cmpx_lt_u32_e32 0x387fffff, v4
	s_xor_b32 s8, exec_lo, s8
; %bb.686:
	v_bfe_u32 v3, v33, 21, 1
	v_add3_u32 v3, v33, v3, 0x80fffff
	v_lshrrev_b32_e32 v3, 21, v3
; %bb.687:
	s_andn2_saveexec_b32 s8, s8
; %bb.688:
	v_add_f32_e64 v3, 0x43000000, |v33|
; %bb.689:
	s_or_b32 exec_lo, exec_lo, s8
                                        ; implicit-def: $vgpr4
.LBB20_690:
	s_andn2_saveexec_b32 s7, s7
; %bb.691:
	v_mov_b32_e32 v3, 0x7f
	v_cmp_lt_u32_e32 vcc_lo, 0x7f800000, v4
	v_cndmask_b32_e32 v3, 0x7c, v3, vcc_lo
; %bb.692:
	s_or_b32 exec_lo, exec_lo, s7
	v_lshrrev_b32_e32 v4, 24, v33
	v_and_or_b32 v3, 0x80, v4, v3
	global_store_byte v[1:2], v3, off
.LBB20_693:
	s_mov_b32 s7, 0
	s_mov_b32 s8, -1
.LBB20_694:
	s_andn2_b32 vcc_lo, exec_lo, s7
	s_mov_b32 s7, 0
	s_cbranch_vccnz .LBB20_701
; %bb.695:
	s_cmp_gt_i32 s6, 14
	s_mov_b32 s7, -1
	s_cbranch_scc0 .LBB20_699
; %bb.696:
	s_cmp_eq_u32 s6, 15
	s_mov_b32 s4, -1
	s_cbranch_scc0 .LBB20_698
; %bb.697:
	v_bfe_u32 v3, v33, 16, 1
	v_cmp_o_f32_e32 vcc_lo, v33, v33
	v_mov_b32_e32 v4, 0x7fc0
	s_mov_b32 s4, 0
	s_mov_b32 s8, -1
	v_add3_u32 v3, v33, v3, 0x7fff
	v_cndmask_b32_sdwa v3, v4, v3, vcc_lo dst_sel:DWORD dst_unused:UNUSED_PAD src0_sel:DWORD src1_sel:WORD_1
	global_store_short v[1:2], v3, off
.LBB20_698:
	s_mov_b32 s7, 0
.LBB20_699:
	s_and_b32 vcc_lo, exec_lo, s7
	s_mov_b32 s7, 0
	s_cbranch_vccz .LBB20_701
; %bb.700:
	s_cmp_lg_u32 s6, 11
	s_mov_b32 s7, -1
	s_cselect_b32 s4, -1, 0
.LBB20_701:
	s_and_b32 vcc_lo, exec_lo, s4
	s_mov_b32 s6, s20
	s_cbranch_vccnz .LBB20_1105
; %bb.702:
	s_andn2_b32 vcc_lo, exec_lo, s7
	s_cbranch_vccnz .LBB20_704
.LBB20_703:
	v_cmp_neq_f32_e32 vcc_lo, 0, v33
	s_mov_b32 s8, -1
	v_cndmask_b32_e64 v3, 0, 1, vcc_lo
	global_store_byte v[1:2], v3, off
.LBB20_704:
.LBB20_705:
	s_andn2_b32 vcc_lo, exec_lo, s8
	s_cbranch_vccz .LBB20_745
	s_branch .LBB20_1057
.LBB20_706:
	s_mov_b32 s8, 0
	s_mov_b32 s6, s20
	s_cbranch_execz .LBB20_705
; %bb.707:
	s_and_b32 s4, 0xffff, s5
	s_mov_b32 s5, -1
	s_cmp_lt_i32 s4, 5
	s_cbranch_scc1 .LBB20_728
; %bb.708:
	s_cmp_lt_i32 s4, 8
	s_cbranch_scc1 .LBB20_718
; %bb.709:
	;; [unrolled: 3-line block ×3, first 2 shown]
	s_cmp_gt_i32 s4, 9
	s_cbranch_scc0 .LBB20_712
; %bb.711:
	v_cvt_f64_f32_e32 v[3:4], v33
	v_mov_b32_e32 v5, 0
	s_mov_b32 s5, 0
	v_mov_b32_e32 v6, v5
	global_store_dwordx4 v[1:2], v[3:6], off
.LBB20_712:
	s_andn2_b32 vcc_lo, exec_lo, s5
	s_cbranch_vccnz .LBB20_714
; %bb.713:
	v_mov_b32_e32 v34, 0
	global_store_dwordx2 v[1:2], v[33:34], off
.LBB20_714:
	s_mov_b32 s5, 0
.LBB20_715:
	s_andn2_b32 vcc_lo, exec_lo, s5
	s_cbranch_vccnz .LBB20_717
; %bb.716:
	v_cvt_f16_f32_e32 v3, v33
	v_and_b32_e32 v3, 0xffff, v3
	global_store_dword v[1:2], v3, off
.LBB20_717:
	s_mov_b32 s5, 0
.LBB20_718:
	s_andn2_b32 vcc_lo, exec_lo, s5
	s_cbranch_vccnz .LBB20_727
; %bb.719:
	s_cmp_lt_i32 s4, 6
	s_mov_b32 s5, -1
	s_cbranch_scc1 .LBB20_725
; %bb.720:
	s_cmp_gt_i32 s4, 6
	s_cbranch_scc0 .LBB20_722
; %bb.721:
	v_cvt_f64_f32_e32 v[3:4], v33
	s_mov_b32 s5, 0
	global_store_dwordx2 v[1:2], v[3:4], off
.LBB20_722:
	s_andn2_b32 vcc_lo, exec_lo, s5
	s_cbranch_vccnz .LBB20_724
; %bb.723:
	global_store_dword v[1:2], v33, off
.LBB20_724:
	s_mov_b32 s5, 0
.LBB20_725:
	s_andn2_b32 vcc_lo, exec_lo, s5
	s_cbranch_vccnz .LBB20_727
; %bb.726:
	v_cvt_f16_f32_e32 v3, v33
	global_store_short v[1:2], v3, off
.LBB20_727:
	s_mov_b32 s5, 0
.LBB20_728:
	s_andn2_b32 vcc_lo, exec_lo, s5
	s_cbranch_vccnz .LBB20_744
; %bb.729:
	s_cmp_lt_i32 s4, 2
	s_mov_b32 s5, -1
	s_cbranch_scc1 .LBB20_739
; %bb.730:
	s_cmp_lt_i32 s4, 3
	s_cbranch_scc1 .LBB20_736
; %bb.731:
	s_cmp_gt_i32 s4, 3
	s_cbranch_scc0 .LBB20_733
; %bb.732:
	v_trunc_f32_e32 v3, v33
	s_mov_b32 s5, 0
	v_mul_f32_e64 v4, 0x2f800000, |v3|
	v_ashrrev_i32_e32 v6, 31, v3
	v_floor_f32_e32 v4, v4
	v_fma_f32 v5, 0xcf800000, v4, |v3|
	v_cvt_u32_f32_e32 v4, v4
	v_cvt_u32_f32_e32 v3, v5
	v_xor_b32_e32 v4, v4, v6
	v_xor_b32_e32 v3, v3, v6
	v_sub_co_u32 v3, vcc_lo, v3, v6
	v_sub_co_ci_u32_e64 v4, null, v4, v6, vcc_lo
	global_store_dwordx2 v[1:2], v[3:4], off
.LBB20_733:
	s_andn2_b32 vcc_lo, exec_lo, s5
	s_cbranch_vccnz .LBB20_735
; %bb.734:
	v_cvt_i32_f32_e32 v3, v33
	global_store_dword v[1:2], v3, off
.LBB20_735:
	s_mov_b32 s5, 0
.LBB20_736:
	s_andn2_b32 vcc_lo, exec_lo, s5
	s_cbranch_vccnz .LBB20_738
; %bb.737:
	v_cvt_i32_f32_e32 v3, v33
	global_store_short v[1:2], v3, off
.LBB20_738:
	s_mov_b32 s5, 0
.LBB20_739:
	s_andn2_b32 vcc_lo, exec_lo, s5
	s_cbranch_vccnz .LBB20_744
; %bb.740:
	s_cmp_gt_i32 s4, 0
	s_mov_b32 s4, -1
	s_cbranch_scc0 .LBB20_742
; %bb.741:
	v_cvt_i32_f32_e32 v3, v33
	s_mov_b32 s4, 0
	global_store_byte v[1:2], v3, off
.LBB20_742:
	s_andn2_b32 vcc_lo, exec_lo, s4
	s_cbranch_vccnz .LBB20_744
; %bb.743:
	v_trunc_f32_e32 v3, v33
	v_mul_f32_e64 v4, 0x2f800000, |v3|
	v_floor_f32_e32 v4, v4
	v_fma_f32 v4, 0xcf800000, v4, |v3|
	v_ashrrev_i32_e32 v3, 31, v3
	v_cvt_u32_f32_e32 v4, v4
	v_xor_b32_e32 v4, v4, v3
	v_sub_nc_u32_e32 v3, v4, v3
	global_store_byte v[1:2], v3, off
.LBB20_744:
.LBB20_745:
	v_add_co_u32 v1, s5, s16, v41
	s_lshr_b32 s4, s22, 8
	v_add_co_ci_u32_e64 v2, null, s17, 0, s5
	s_and_b32 s5, s4, 0xff
	s_cmp_lt_i32 s5, 11
	s_cbranch_scc1 .LBB20_824
; %bb.746:
	s_and_b32 s7, 0xffff, s5
	s_mov_b32 s10, -1
	s_mov_b32 s8, 0
	s_cmp_gt_i32 s7, 25
	s_mov_b32 s9, 0
	s_mov_b32 s4, 0
	s_cbranch_scc0 .LBB20_779
; %bb.747:
	s_cmp_gt_i32 s7, 28
	s_cbranch_scc0 .LBB20_762
; %bb.748:
	s_cmp_gt_i32 s7, 43
	;; [unrolled: 3-line block ×3, first 2 shown]
	s_cbranch_scc0 .LBB20_752
; %bb.750:
	s_mov_b32 s4, -1
	s_mov_b32 s10, 0
	s_cmp_eq_u32 s7, 46
	s_cbranch_scc0 .LBB20_752
; %bb.751:
	v_bfe_u32 v3, v32, 16, 1
	v_cmp_o_f32_e32 vcc_lo, v32, v32
	v_mov_b32_e32 v4, 0x7fc0
	s_mov_b32 s4, 0
	s_mov_b32 s9, -1
	v_add3_u32 v3, v32, v3, 0x7fff
	v_cndmask_b32_sdwa v3, v4, v3, vcc_lo dst_sel:DWORD dst_unused:UNUSED_PAD src0_sel:DWORD src1_sel:WORD_1
	global_store_dword v[1:2], v3, off
.LBB20_752:
	s_and_b32 vcc_lo, exec_lo, s10
	s_cbranch_vccz .LBB20_757
; %bb.753:
	s_cmp_eq_u32 s7, 44
	s_mov_b32 s4, -1
	s_cbranch_scc0 .LBB20_757
; %bb.754:
	v_bfe_u32 v4, v32, 23, 8
	v_mov_b32_e32 v3, 0xff
	s_mov_b32 s9, exec_lo
	v_cmpx_ne_u32_e32 0xff, v4
	s_cbranch_execz .LBB20_756
; %bb.755:
	v_and_b32_e32 v3, 0x400000, v32
	v_and_or_b32 v4, 0x3fffff, v32, v4
	v_cmp_ne_u32_e32 vcc_lo, 0, v3
	v_cmp_ne_u32_e64 s4, 0, v4
	v_lshrrev_b32_e32 v3, 23, v32
	s_and_b32 s4, vcc_lo, s4
	v_cndmask_b32_e64 v4, 0, 1, s4
	v_add_nc_u32_e32 v3, v3, v4
.LBB20_756:
	s_or_b32 exec_lo, exec_lo, s9
	s_mov_b32 s4, 0
	s_mov_b32 s9, -1
	global_store_byte v[1:2], v3, off
.LBB20_757:
	s_mov_b32 s10, 0
.LBB20_758:
	s_and_b32 vcc_lo, exec_lo, s10
	s_cbranch_vccz .LBB20_761
; %bb.759:
	s_cmp_eq_u32 s7, 29
	s_mov_b32 s4, -1
	s_cbranch_scc0 .LBB20_761
; %bb.760:
	v_trunc_f32_e32 v3, v32
	s_mov_b32 s4, 0
	s_mov_b32 s9, -1
	v_mul_f32_e32 v4, 0x2f800000, v3
	v_floor_f32_e32 v4, v4
	v_fmamk_f32 v3, v4, 0xcf800000, v3
	v_cvt_u32_f32_e32 v4, v4
	v_cvt_u32_f32_e32 v3, v3
	global_store_dwordx2 v[1:2], v[3:4], off
.LBB20_761:
	s_mov_b32 s10, 0
.LBB20_762:
	s_and_b32 vcc_lo, exec_lo, s10
	s_cbranch_vccz .LBB20_778
; %bb.763:
	s_cmp_lt_i32 s7, 27
	s_mov_b32 s9, -1
	s_cbranch_scc1 .LBB20_769
; %bb.764:
	s_cmp_gt_i32 s7, 27
	s_cbranch_scc0 .LBB20_766
; %bb.765:
	v_cvt_u32_f32_e32 v3, v32
	s_mov_b32 s9, 0
	global_store_dword v[1:2], v3, off
.LBB20_766:
	s_andn2_b32 vcc_lo, exec_lo, s9
	s_cbranch_vccnz .LBB20_768
; %bb.767:
	v_cvt_u32_f32_e32 v3, v32
	global_store_short v[1:2], v3, off
.LBB20_768:
	s_mov_b32 s9, 0
.LBB20_769:
	s_andn2_b32 vcc_lo, exec_lo, s9
	s_cbranch_vccnz .LBB20_777
; %bb.770:
	v_and_b32_e32 v3, 0x7fffffff, v32
	v_mov_b32_e32 v4, 0x80
	s_mov_b32 s9, exec_lo
	v_cmpx_gt_u32_e32 0x43800000, v3
	s_cbranch_execz .LBB20_776
; %bb.771:
	v_cmp_lt_u32_e32 vcc_lo, 0x3bffffff, v3
	s_mov_b32 s10, 0
                                        ; implicit-def: $vgpr3
	s_and_saveexec_b32 s11, vcc_lo
	s_xor_b32 s11, exec_lo, s11
	s_cbranch_execz .LBB20_1108
; %bb.772:
	v_bfe_u32 v3, v32, 20, 1
	s_mov_b32 s10, exec_lo
	v_add3_u32 v3, v32, v3, 0x487ffff
	v_lshrrev_b32_e32 v3, 20, v3
	s_andn2_saveexec_b32 s11, s11
	s_cbranch_execnz .LBB20_1109
.LBB20_773:
	s_or_b32 exec_lo, exec_lo, s11
	v_mov_b32_e32 v4, 0
	s_and_saveexec_b32 s11, s10
.LBB20_774:
	v_lshrrev_b32_e32 v4, 24, v32
	v_and_or_b32 v4, 0x80, v4, v3
.LBB20_775:
	s_or_b32 exec_lo, exec_lo, s11
.LBB20_776:
	s_or_b32 exec_lo, exec_lo, s9
	global_store_byte v[1:2], v4, off
.LBB20_777:
	s_mov_b32 s9, -1
.LBB20_778:
	s_mov_b32 s10, 0
.LBB20_779:
	s_and_b32 vcc_lo, exec_lo, s10
	s_cbranch_vccz .LBB20_819
; %bb.780:
	s_cmp_gt_i32 s7, 22
	s_mov_b32 s8, -1
	s_cbranch_scc0 .LBB20_812
; %bb.781:
	s_cmp_lt_i32 s7, 24
	s_cbranch_scc1 .LBB20_801
; %bb.782:
	s_cmp_gt_i32 s7, 24
	s_cbranch_scc0 .LBB20_790
; %bb.783:
	v_and_b32_e32 v3, 0x7fffffff, v32
	v_mov_b32_e32 v4, 0x80
	s_mov_b32 s8, exec_lo
	v_cmpx_gt_u32_e32 0x47800000, v3
	s_cbranch_execz .LBB20_789
; %bb.784:
	v_cmp_lt_u32_e32 vcc_lo, 0x37ffffff, v3
	s_mov_b32 s9, 0
                                        ; implicit-def: $vgpr3
	s_and_saveexec_b32 s10, vcc_lo
	s_xor_b32 s10, exec_lo, s10
	s_cbranch_execz .LBB20_1111
; %bb.785:
	v_bfe_u32 v3, v32, 21, 1
	s_mov_b32 s9, exec_lo
	v_add3_u32 v3, v32, v3, 0x88fffff
	v_lshrrev_b32_e32 v3, 21, v3
	s_andn2_saveexec_b32 s10, s10
	s_cbranch_execnz .LBB20_1112
.LBB20_786:
	s_or_b32 exec_lo, exec_lo, s10
	v_mov_b32_e32 v4, 0
	s_and_saveexec_b32 s10, s9
.LBB20_787:
	v_lshrrev_b32_e32 v4, 24, v32
	v_and_or_b32 v4, 0x80, v4, v3
.LBB20_788:
	s_or_b32 exec_lo, exec_lo, s10
.LBB20_789:
	s_or_b32 exec_lo, exec_lo, s8
	s_mov_b32 s8, 0
	global_store_byte v[1:2], v4, off
.LBB20_790:
	s_and_b32 vcc_lo, exec_lo, s8
	s_cbranch_vccz .LBB20_800
; %bb.791:
	v_and_b32_e32 v4, 0x7fffffff, v32
	s_mov_b32 s8, exec_lo
                                        ; implicit-def: $vgpr3
	v_cmpx_gt_u32_e32 0x43f00000, v4
	s_xor_b32 s8, exec_lo, s8
	s_cbranch_execz .LBB20_797
; %bb.792:
	s_mov_b32 s9, exec_lo
                                        ; implicit-def: $vgpr3
	v_cmpx_lt_u32_e32 0x3c7fffff, v4
	s_xor_b32 s9, exec_lo, s9
; %bb.793:
	v_bfe_u32 v3, v32, 20, 1
	v_add3_u32 v3, v32, v3, 0x407ffff
	v_and_b32_e32 v4, 0xff00000, v3
	v_lshrrev_b32_e32 v3, 20, v3
	v_cmp_ne_u32_e32 vcc_lo, 0x7f00000, v4
	v_cndmask_b32_e32 v3, 0x7e, v3, vcc_lo
; %bb.794:
	s_andn2_saveexec_b32 s9, s9
; %bb.795:
	v_add_f32_e64 v3, 0x46800000, |v32|
; %bb.796:
	s_or_b32 exec_lo, exec_lo, s9
                                        ; implicit-def: $vgpr4
.LBB20_797:
	s_andn2_saveexec_b32 s8, s8
; %bb.798:
	v_mov_b32_e32 v3, 0x7f
	v_cmp_lt_u32_e32 vcc_lo, 0x7f800000, v4
	v_cndmask_b32_e32 v3, 0x7e, v3, vcc_lo
; %bb.799:
	s_or_b32 exec_lo, exec_lo, s8
	v_lshrrev_b32_e32 v4, 24, v32
	v_and_or_b32 v3, 0x80, v4, v3
	global_store_byte v[1:2], v3, off
.LBB20_800:
	s_mov_b32 s8, 0
.LBB20_801:
	s_andn2_b32 vcc_lo, exec_lo, s8
	s_cbranch_vccnz .LBB20_811
; %bb.802:
	v_and_b32_e32 v4, 0x7fffffff, v32
	s_mov_b32 s8, exec_lo
                                        ; implicit-def: $vgpr3
	v_cmpx_gt_u32_e32 0x47800000, v4
	s_xor_b32 s8, exec_lo, s8
	s_cbranch_execz .LBB20_808
; %bb.803:
	s_mov_b32 s9, exec_lo
                                        ; implicit-def: $vgpr3
	v_cmpx_lt_u32_e32 0x387fffff, v4
	s_xor_b32 s9, exec_lo, s9
; %bb.804:
	v_bfe_u32 v3, v32, 21, 1
	v_add3_u32 v3, v32, v3, 0x80fffff
	v_lshrrev_b32_e32 v3, 21, v3
; %bb.805:
	s_andn2_saveexec_b32 s9, s9
; %bb.806:
	v_add_f32_e64 v3, 0x43000000, |v32|
; %bb.807:
	s_or_b32 exec_lo, exec_lo, s9
                                        ; implicit-def: $vgpr4
.LBB20_808:
	s_andn2_saveexec_b32 s8, s8
; %bb.809:
	v_mov_b32_e32 v3, 0x7f
	v_cmp_lt_u32_e32 vcc_lo, 0x7f800000, v4
	v_cndmask_b32_e32 v3, 0x7c, v3, vcc_lo
; %bb.810:
	s_or_b32 exec_lo, exec_lo, s8
	v_lshrrev_b32_e32 v4, 24, v32
	v_and_or_b32 v3, 0x80, v4, v3
	global_store_byte v[1:2], v3, off
.LBB20_811:
	s_mov_b32 s8, 0
	s_mov_b32 s9, -1
.LBB20_812:
	s_andn2_b32 vcc_lo, exec_lo, s8
	s_mov_b32 s8, 0
	s_cbranch_vccnz .LBB20_819
; %bb.813:
	s_cmp_gt_i32 s7, 14
	s_mov_b32 s8, -1
	s_cbranch_scc0 .LBB20_817
; %bb.814:
	s_cmp_eq_u32 s7, 15
	s_mov_b32 s4, -1
	s_cbranch_scc0 .LBB20_816
; %bb.815:
	v_bfe_u32 v3, v32, 16, 1
	v_cmp_o_f32_e32 vcc_lo, v32, v32
	v_mov_b32_e32 v4, 0x7fc0
	s_mov_b32 s4, 0
	s_mov_b32 s9, -1
	v_add3_u32 v3, v32, v3, 0x7fff
	v_cndmask_b32_sdwa v3, v4, v3, vcc_lo dst_sel:DWORD dst_unused:UNUSED_PAD src0_sel:DWORD src1_sel:WORD_1
	global_store_short v[1:2], v3, off
.LBB20_816:
	s_mov_b32 s8, 0
.LBB20_817:
	s_and_b32 vcc_lo, exec_lo, s8
	s_mov_b32 s8, 0
	s_cbranch_vccz .LBB20_819
; %bb.818:
	s_cmp_lg_u32 s7, 11
	s_mov_b32 s8, -1
	s_cselect_b32 s4, -1, 0
.LBB20_819:
	s_and_b32 vcc_lo, exec_lo, s4
	s_cbranch_vccnz .LBB20_1110
; %bb.820:
	s_andn2_b32 vcc_lo, exec_lo, s8
	s_cbranch_vccnz .LBB20_822
.LBB20_821:
	v_cmp_neq_f32_e32 vcc_lo, 0, v32
	s_mov_b32 s9, -1
	v_cndmask_b32_e64 v3, 0, 1, vcc_lo
	global_store_byte v[1:2], v3, off
.LBB20_822:
.LBB20_823:
	s_andn2_b32 vcc_lo, exec_lo, s9
	s_cbranch_vccz .LBB20_863
	s_branch .LBB20_1057
.LBB20_824:
	s_mov_b32 s9, 0
	s_cbranch_execz .LBB20_823
; %bb.825:
	s_and_b32 s4, 0xffff, s5
	s_mov_b32 s7, -1
	s_cmp_lt_i32 s4, 5
	s_cbranch_scc1 .LBB20_846
; %bb.826:
	s_cmp_lt_i32 s4, 8
	s_cbranch_scc1 .LBB20_836
; %bb.827:
	;; [unrolled: 3-line block ×3, first 2 shown]
	s_cmp_gt_i32 s4, 9
	s_cbranch_scc0 .LBB20_830
; %bb.829:
	v_cvt_f64_f32_e32 v[3:4], v32
	v_mov_b32_e32 v5, 0
	s_mov_b32 s7, 0
	v_mov_b32_e32 v6, v5
	global_store_dwordx4 v[1:2], v[3:6], off
.LBB20_830:
	s_andn2_b32 vcc_lo, exec_lo, s7
	s_cbranch_vccnz .LBB20_832
; %bb.831:
	v_mov_b32_e32 v33, 0
	global_store_dwordx2 v[1:2], v[32:33], off
.LBB20_832:
	s_mov_b32 s7, 0
.LBB20_833:
	s_andn2_b32 vcc_lo, exec_lo, s7
	s_cbranch_vccnz .LBB20_835
; %bb.834:
	v_cvt_f16_f32_e32 v3, v32
	v_and_b32_e32 v3, 0xffff, v3
	global_store_dword v[1:2], v3, off
.LBB20_835:
	s_mov_b32 s7, 0
.LBB20_836:
	s_andn2_b32 vcc_lo, exec_lo, s7
	s_cbranch_vccnz .LBB20_845
; %bb.837:
	s_cmp_lt_i32 s4, 6
	s_mov_b32 s7, -1
	s_cbranch_scc1 .LBB20_843
; %bb.838:
	s_cmp_gt_i32 s4, 6
	s_cbranch_scc0 .LBB20_840
; %bb.839:
	v_cvt_f64_f32_e32 v[3:4], v32
	s_mov_b32 s7, 0
	global_store_dwordx2 v[1:2], v[3:4], off
.LBB20_840:
	s_andn2_b32 vcc_lo, exec_lo, s7
	s_cbranch_vccnz .LBB20_842
; %bb.841:
	global_store_dword v[1:2], v32, off
.LBB20_842:
	s_mov_b32 s7, 0
.LBB20_843:
	s_andn2_b32 vcc_lo, exec_lo, s7
	s_cbranch_vccnz .LBB20_845
; %bb.844:
	v_cvt_f16_f32_e32 v3, v32
	global_store_short v[1:2], v3, off
.LBB20_845:
	s_mov_b32 s7, 0
.LBB20_846:
	s_andn2_b32 vcc_lo, exec_lo, s7
	s_cbranch_vccnz .LBB20_862
; %bb.847:
	s_cmp_lt_i32 s4, 2
	s_mov_b32 s7, -1
	s_cbranch_scc1 .LBB20_857
; %bb.848:
	s_cmp_lt_i32 s4, 3
	s_cbranch_scc1 .LBB20_854
; %bb.849:
	s_cmp_gt_i32 s4, 3
	s_cbranch_scc0 .LBB20_851
; %bb.850:
	v_trunc_f32_e32 v3, v32
	s_mov_b32 s7, 0
	v_mul_f32_e64 v4, 0x2f800000, |v3|
	v_ashrrev_i32_e32 v6, 31, v3
	v_floor_f32_e32 v4, v4
	v_fma_f32 v5, 0xcf800000, v4, |v3|
	v_cvt_u32_f32_e32 v4, v4
	v_cvt_u32_f32_e32 v3, v5
	v_xor_b32_e32 v4, v4, v6
	v_xor_b32_e32 v3, v3, v6
	v_sub_co_u32 v3, vcc_lo, v3, v6
	v_sub_co_ci_u32_e64 v4, null, v4, v6, vcc_lo
	global_store_dwordx2 v[1:2], v[3:4], off
.LBB20_851:
	s_andn2_b32 vcc_lo, exec_lo, s7
	s_cbranch_vccnz .LBB20_853
; %bb.852:
	v_cvt_i32_f32_e32 v3, v32
	global_store_dword v[1:2], v3, off
.LBB20_853:
	s_mov_b32 s7, 0
.LBB20_854:
	s_andn2_b32 vcc_lo, exec_lo, s7
	s_cbranch_vccnz .LBB20_856
; %bb.855:
	v_cvt_i32_f32_e32 v3, v32
	global_store_short v[1:2], v3, off
.LBB20_856:
	s_mov_b32 s7, 0
.LBB20_857:
	s_andn2_b32 vcc_lo, exec_lo, s7
	s_cbranch_vccnz .LBB20_862
; %bb.858:
	s_cmp_gt_i32 s4, 0
	s_mov_b32 s4, -1
	s_cbranch_scc0 .LBB20_860
; %bb.859:
	v_cvt_i32_f32_e32 v3, v32
	s_mov_b32 s4, 0
	global_store_byte v[1:2], v3, off
.LBB20_860:
	s_andn2_b32 vcc_lo, exec_lo, s4
	s_cbranch_vccnz .LBB20_862
; %bb.861:
	v_trunc_f32_e32 v3, v32
	v_mul_f32_e64 v4, 0x2f800000, |v3|
	v_floor_f32_e32 v4, v4
	v_fma_f32 v4, 0xcf800000, v4, |v3|
	v_ashrrev_i32_e32 v3, 31, v3
	v_cvt_u32_f32_e32 v4, v4
	v_xor_b32_e32 v4, v4, v3
	v_sub_nc_u32_e32 v3, v4, v3
	global_store_byte v[1:2], v3, off
.LBB20_862:
.LBB20_863:
	v_add_co_u32 v1, s4, s16, v39
	v_add_co_ci_u32_e64 v2, null, s17, 0, s4
	s_cmp_lt_i32 s5, 11
	s_cbranch_scc1 .LBB20_1018
; %bb.864:
	s_and_b32 s7, 0xffff, s5
	s_mov_b32 s10, -1
	s_mov_b32 s8, 0
	s_cmp_gt_i32 s7, 25
	s_mov_b32 s9, 0
	s_mov_b32 s4, 0
	s_cbranch_scc0 .LBB20_897
; %bb.865:
	s_cmp_gt_i32 s7, 28
	s_cbranch_scc0 .LBB20_880
; %bb.866:
	s_cmp_gt_i32 s7, 43
	;; [unrolled: 3-line block ×3, first 2 shown]
	s_cbranch_scc0 .LBB20_870
; %bb.868:
	s_mov_b32 s4, -1
	s_mov_b32 s10, 0
	s_cmp_eq_u32 s7, 46
	s_cbranch_scc0 .LBB20_870
; %bb.869:
	v_bfe_u32 v3, v31, 16, 1
	v_cmp_o_f32_e32 vcc_lo, v31, v31
	v_mov_b32_e32 v4, 0x7fc0
	s_mov_b32 s4, 0
	s_mov_b32 s9, -1
	v_add3_u32 v3, v31, v3, 0x7fff
	v_cndmask_b32_sdwa v3, v4, v3, vcc_lo dst_sel:DWORD dst_unused:UNUSED_PAD src0_sel:DWORD src1_sel:WORD_1
	global_store_dword v[1:2], v3, off
.LBB20_870:
	s_and_b32 vcc_lo, exec_lo, s10
	s_cbranch_vccz .LBB20_875
; %bb.871:
	s_cmp_eq_u32 s7, 44
	s_mov_b32 s4, -1
	s_cbranch_scc0 .LBB20_875
; %bb.872:
	v_bfe_u32 v4, v31, 23, 8
	v_mov_b32_e32 v3, 0xff
	s_mov_b32 s9, exec_lo
	v_cmpx_ne_u32_e32 0xff, v4
	s_cbranch_execz .LBB20_874
; %bb.873:
	v_and_b32_e32 v3, 0x400000, v31
	v_and_or_b32 v4, 0x3fffff, v31, v4
	v_cmp_ne_u32_e32 vcc_lo, 0, v3
	v_cmp_ne_u32_e64 s4, 0, v4
	v_lshrrev_b32_e32 v3, 23, v31
	s_and_b32 s4, vcc_lo, s4
	v_cndmask_b32_e64 v4, 0, 1, s4
	v_add_nc_u32_e32 v3, v3, v4
.LBB20_874:
	s_or_b32 exec_lo, exec_lo, s9
	s_mov_b32 s4, 0
	s_mov_b32 s9, -1
	global_store_byte v[1:2], v3, off
.LBB20_875:
	s_mov_b32 s10, 0
.LBB20_876:
	s_and_b32 vcc_lo, exec_lo, s10
	s_cbranch_vccz .LBB20_879
; %bb.877:
	s_cmp_eq_u32 s7, 29
	s_mov_b32 s4, -1
	s_cbranch_scc0 .LBB20_879
; %bb.878:
	v_trunc_f32_e32 v3, v31
	s_mov_b32 s4, 0
	s_mov_b32 s9, -1
	v_mul_f32_e32 v4, 0x2f800000, v3
	v_floor_f32_e32 v4, v4
	v_fmamk_f32 v3, v4, 0xcf800000, v3
	v_cvt_u32_f32_e32 v4, v4
	v_cvt_u32_f32_e32 v3, v3
	global_store_dwordx2 v[1:2], v[3:4], off
.LBB20_879:
	s_mov_b32 s10, 0
.LBB20_880:
	s_and_b32 vcc_lo, exec_lo, s10
	s_cbranch_vccz .LBB20_896
; %bb.881:
	s_cmp_lt_i32 s7, 27
	s_mov_b32 s9, -1
	s_cbranch_scc1 .LBB20_887
; %bb.882:
	v_cvt_u32_f32_e32 v3, v31
	s_cmp_gt_i32 s7, 27
	s_cbranch_scc0 .LBB20_884
; %bb.883:
	s_mov_b32 s9, 0
	global_store_dword v[1:2], v3, off
.LBB20_884:
	s_andn2_b32 vcc_lo, exec_lo, s9
	s_cbranch_vccnz .LBB20_886
; %bb.885:
	global_store_short v[1:2], v3, off
.LBB20_886:
	s_mov_b32 s9, 0
.LBB20_887:
	s_andn2_b32 vcc_lo, exec_lo, s9
	s_cbranch_vccnz .LBB20_895
; %bb.888:
	v_and_b32_e32 v3, 0x7fffffff, v31
	v_mov_b32_e32 v4, 0x80
	s_mov_b32 s9, exec_lo
	v_cmpx_gt_u32_e32 0x43800000, v3
	s_cbranch_execz .LBB20_894
; %bb.889:
	v_cmp_lt_u32_e32 vcc_lo, 0x3bffffff, v3
	s_mov_b32 s10, 0
                                        ; implicit-def: $vgpr3
	s_and_saveexec_b32 s11, vcc_lo
	s_xor_b32 s11, exec_lo, s11
	s_cbranch_execz .LBB20_1113
; %bb.890:
	v_bfe_u32 v3, v31, 20, 1
	s_mov_b32 s10, exec_lo
	v_add3_u32 v3, v31, v3, 0x487ffff
	v_lshrrev_b32_e32 v3, 20, v3
	s_andn2_saveexec_b32 s11, s11
	s_cbranch_execnz .LBB20_1114
.LBB20_891:
	s_or_b32 exec_lo, exec_lo, s11
	v_mov_b32_e32 v4, 0
	s_and_saveexec_b32 s11, s10
.LBB20_892:
	v_lshrrev_b32_e32 v4, 24, v31
	v_and_or_b32 v4, 0x80, v4, v3
.LBB20_893:
	s_or_b32 exec_lo, exec_lo, s11
.LBB20_894:
	s_or_b32 exec_lo, exec_lo, s9
	global_store_byte v[1:2], v4, off
.LBB20_895:
	s_mov_b32 s9, -1
.LBB20_896:
	s_mov_b32 s10, 0
.LBB20_897:
	s_and_b32 vcc_lo, exec_lo, s10
	s_cbranch_vccz .LBB20_937
; %bb.898:
	s_cmp_gt_i32 s7, 22
	s_mov_b32 s8, -1
	s_cbranch_scc0 .LBB20_930
; %bb.899:
	s_cmp_lt_i32 s7, 24
	s_cbranch_scc1 .LBB20_919
; %bb.900:
	s_cmp_gt_i32 s7, 24
	s_cbranch_scc0 .LBB20_908
; %bb.901:
	v_and_b32_e32 v3, 0x7fffffff, v31
	v_mov_b32_e32 v4, 0x80
	s_mov_b32 s8, exec_lo
	v_cmpx_gt_u32_e32 0x47800000, v3
	s_cbranch_execz .LBB20_907
; %bb.902:
	v_cmp_lt_u32_e32 vcc_lo, 0x37ffffff, v3
	s_mov_b32 s9, 0
                                        ; implicit-def: $vgpr3
	s_and_saveexec_b32 s10, vcc_lo
	s_xor_b32 s10, exec_lo, s10
	s_cbranch_execz .LBB20_1116
; %bb.903:
	v_bfe_u32 v3, v31, 21, 1
	s_mov_b32 s9, exec_lo
	v_add3_u32 v3, v31, v3, 0x88fffff
	v_lshrrev_b32_e32 v3, 21, v3
	s_andn2_saveexec_b32 s10, s10
	s_cbranch_execnz .LBB20_1117
.LBB20_904:
	s_or_b32 exec_lo, exec_lo, s10
	v_mov_b32_e32 v4, 0
	s_and_saveexec_b32 s10, s9
.LBB20_905:
	v_lshrrev_b32_e32 v4, 24, v31
	v_and_or_b32 v4, 0x80, v4, v3
.LBB20_906:
	s_or_b32 exec_lo, exec_lo, s10
.LBB20_907:
	s_or_b32 exec_lo, exec_lo, s8
	s_mov_b32 s8, 0
	global_store_byte v[1:2], v4, off
.LBB20_908:
	s_and_b32 vcc_lo, exec_lo, s8
	s_cbranch_vccz .LBB20_918
; %bb.909:
	v_and_b32_e32 v4, 0x7fffffff, v31
	s_mov_b32 s8, exec_lo
                                        ; implicit-def: $vgpr3
	v_cmpx_gt_u32_e32 0x43f00000, v4
	s_xor_b32 s8, exec_lo, s8
	s_cbranch_execz .LBB20_915
; %bb.910:
	s_mov_b32 s9, exec_lo
                                        ; implicit-def: $vgpr3
	v_cmpx_lt_u32_e32 0x3c7fffff, v4
	s_xor_b32 s9, exec_lo, s9
; %bb.911:
	v_bfe_u32 v3, v31, 20, 1
	v_add3_u32 v3, v31, v3, 0x407ffff
	v_and_b32_e32 v4, 0xff00000, v3
	v_lshrrev_b32_e32 v3, 20, v3
	v_cmp_ne_u32_e32 vcc_lo, 0x7f00000, v4
	v_cndmask_b32_e32 v3, 0x7e, v3, vcc_lo
; %bb.912:
	s_andn2_saveexec_b32 s9, s9
; %bb.913:
	v_add_f32_e64 v3, 0x46800000, |v31|
; %bb.914:
	s_or_b32 exec_lo, exec_lo, s9
                                        ; implicit-def: $vgpr4
.LBB20_915:
	s_andn2_saveexec_b32 s8, s8
; %bb.916:
	v_mov_b32_e32 v3, 0x7f
	v_cmp_lt_u32_e32 vcc_lo, 0x7f800000, v4
	v_cndmask_b32_e32 v3, 0x7e, v3, vcc_lo
; %bb.917:
	s_or_b32 exec_lo, exec_lo, s8
	v_lshrrev_b32_e32 v4, 24, v31
	v_and_or_b32 v3, 0x80, v4, v3
	global_store_byte v[1:2], v3, off
.LBB20_918:
	s_mov_b32 s8, 0
.LBB20_919:
	s_andn2_b32 vcc_lo, exec_lo, s8
	s_cbranch_vccnz .LBB20_929
; %bb.920:
	v_and_b32_e32 v4, 0x7fffffff, v31
	s_mov_b32 s8, exec_lo
                                        ; implicit-def: $vgpr3
	v_cmpx_gt_u32_e32 0x47800000, v4
	s_xor_b32 s8, exec_lo, s8
	s_cbranch_execz .LBB20_926
; %bb.921:
	s_mov_b32 s9, exec_lo
                                        ; implicit-def: $vgpr3
	v_cmpx_lt_u32_e32 0x387fffff, v4
	s_xor_b32 s9, exec_lo, s9
; %bb.922:
	v_bfe_u32 v3, v31, 21, 1
	v_add3_u32 v3, v31, v3, 0x80fffff
	v_lshrrev_b32_e32 v3, 21, v3
; %bb.923:
	s_andn2_saveexec_b32 s9, s9
; %bb.924:
	v_add_f32_e64 v3, 0x43000000, |v31|
; %bb.925:
	s_or_b32 exec_lo, exec_lo, s9
                                        ; implicit-def: $vgpr4
.LBB20_926:
	s_andn2_saveexec_b32 s8, s8
; %bb.927:
	v_mov_b32_e32 v3, 0x7f
	v_cmp_lt_u32_e32 vcc_lo, 0x7f800000, v4
	v_cndmask_b32_e32 v3, 0x7c, v3, vcc_lo
; %bb.928:
	s_or_b32 exec_lo, exec_lo, s8
	v_lshrrev_b32_e32 v4, 24, v31
	v_and_or_b32 v3, 0x80, v4, v3
	global_store_byte v[1:2], v3, off
.LBB20_929:
	s_mov_b32 s8, 0
	s_mov_b32 s9, -1
.LBB20_930:
	s_andn2_b32 vcc_lo, exec_lo, s8
	s_mov_b32 s8, 0
	s_cbranch_vccnz .LBB20_937
; %bb.931:
	s_cmp_gt_i32 s7, 14
	s_mov_b32 s8, -1
	s_cbranch_scc0 .LBB20_935
; %bb.932:
	s_cmp_eq_u32 s7, 15
	s_mov_b32 s4, -1
	s_cbranch_scc0 .LBB20_934
; %bb.933:
	v_bfe_u32 v3, v31, 16, 1
	v_cmp_o_f32_e32 vcc_lo, v31, v31
	v_mov_b32_e32 v4, 0x7fc0
	s_mov_b32 s4, 0
	s_mov_b32 s9, -1
	v_add3_u32 v3, v31, v3, 0x7fff
	v_cndmask_b32_sdwa v3, v4, v3, vcc_lo dst_sel:DWORD dst_unused:UNUSED_PAD src0_sel:DWORD src1_sel:WORD_1
	global_store_short v[1:2], v3, off
.LBB20_934:
	s_mov_b32 s8, 0
.LBB20_935:
	s_and_b32 vcc_lo, exec_lo, s8
	s_mov_b32 s8, 0
	s_cbranch_vccz .LBB20_937
; %bb.936:
	s_cmp_lg_u32 s7, 11
	s_mov_b32 s8, -1
	s_cselect_b32 s4, -1, 0
.LBB20_937:
	s_and_b32 vcc_lo, exec_lo, s4
	s_cbranch_vccnz .LBB20_1115
; %bb.938:
	s_andn2_b32 vcc_lo, exec_lo, s8
	s_cbranch_vccnz .LBB20_940
.LBB20_939:
	v_cmp_neq_f32_e32 vcc_lo, 0, v31
	s_mov_b32 s9, -1
	v_cndmask_b32_e64 v3, 0, 1, vcc_lo
	global_store_byte v[1:2], v3, off
.LBB20_940:
.LBB20_941:
	s_andn2_b32 vcc_lo, exec_lo, s9
	s_cbranch_vccnz .LBB20_1057
.LBB20_942:
	v_add_co_u32 v2, s4, s16, v37
	v_add_co_ci_u32_e64 v3, null, s17, 0, s4
	s_cmp_lt_i32 s5, 11
	s_cbranch_scc1 .LBB20_1102
; %bb.943:
	s_and_b32 s7, 0xffff, s5
	s_mov_b32 s9, -1
	s_mov_b32 s8, 0
	s_cmp_gt_i32 s7, 25
	s_mov_b32 s4, 0
	s_cbranch_scc0 .LBB20_976
; %bb.944:
	s_cmp_gt_i32 s7, 28
	s_cbranch_scc0 .LBB20_960
; %bb.945:
	s_cmp_gt_i32 s7, 43
	;; [unrolled: 3-line block ×3, first 2 shown]
	s_cbranch_scc0 .LBB20_950
; %bb.947:
	s_cmp_eq_u32 s7, 46
	s_mov_b32 s4, -1
	s_cbranch_scc0 .LBB20_949
; %bb.948:
	v_bfe_u32 v1, v0, 16, 1
	v_cmp_o_f32_e32 vcc_lo, v0, v0
	v_mov_b32_e32 v4, 0x7fc0
	s_mov_b32 s4, 0
	v_add3_u32 v1, v0, v1, 0x7fff
	v_cndmask_b32_sdwa v1, v4, v1, vcc_lo dst_sel:DWORD dst_unused:UNUSED_PAD src0_sel:DWORD src1_sel:WORD_1
	global_store_dword v[2:3], v1, off
.LBB20_949:
	s_mov_b32 s9, 0
.LBB20_950:
	s_and_b32 vcc_lo, exec_lo, s9
	s_cbranch_vccz .LBB20_955
; %bb.951:
	s_cmp_eq_u32 s7, 44
	s_mov_b32 s4, -1
	s_cbranch_scc0 .LBB20_955
; %bb.952:
	v_bfe_u32 v4, v0, 23, 8
	v_mov_b32_e32 v1, 0xff
	s_mov_b32 s9, exec_lo
	v_cmpx_ne_u32_e32 0xff, v4
	s_cbranch_execz .LBB20_954
; %bb.953:
	v_and_b32_e32 v1, 0x400000, v0
	v_and_or_b32 v4, 0x3fffff, v0, v4
	v_cmp_ne_u32_e32 vcc_lo, 0, v1
	v_cmp_ne_u32_e64 s4, 0, v4
	v_lshrrev_b32_e32 v1, 23, v0
	s_and_b32 s4, vcc_lo, s4
	v_cndmask_b32_e64 v4, 0, 1, s4
	v_add_nc_u32_e32 v1, v1, v4
.LBB20_954:
	s_or_b32 exec_lo, exec_lo, s9
	s_mov_b32 s4, 0
	global_store_byte v[2:3], v1, off
.LBB20_955:
	s_mov_b32 s9, 0
.LBB20_956:
	s_and_b32 vcc_lo, exec_lo, s9
	s_cbranch_vccz .LBB20_959
; %bb.957:
	s_cmp_eq_u32 s7, 29
	s_mov_b32 s4, -1
	s_cbranch_scc0 .LBB20_959
; %bb.958:
	v_trunc_f32_e32 v1, v0
	s_mov_b32 s4, 0
	v_mul_f32_e32 v4, 0x2f800000, v1
	v_floor_f32_e32 v4, v4
	v_fmamk_f32 v1, v4, 0xcf800000, v1
	v_cvt_u32_f32_e32 v5, v4
	v_cvt_u32_f32_e32 v4, v1
	global_store_dwordx2 v[2:3], v[4:5], off
.LBB20_959:
	s_mov_b32 s9, 0
.LBB20_960:
	s_and_b32 vcc_lo, exec_lo, s9
	s_cbranch_vccz .LBB20_975
; %bb.961:
	s_cmp_lt_i32 s7, 27
	s_mov_b32 s9, -1
	s_cbranch_scc1 .LBB20_967
; %bb.962:
	v_cvt_u32_f32_e32 v1, v0
	s_cmp_gt_i32 s7, 27
	s_cbranch_scc0 .LBB20_964
; %bb.963:
	s_mov_b32 s9, 0
	global_store_dword v[2:3], v1, off
.LBB20_964:
	s_andn2_b32 vcc_lo, exec_lo, s9
	s_cbranch_vccnz .LBB20_966
; %bb.965:
	global_store_short v[2:3], v1, off
.LBB20_966:
	s_mov_b32 s9, 0
.LBB20_967:
	s_andn2_b32 vcc_lo, exec_lo, s9
	s_cbranch_vccnz .LBB20_975
; %bb.968:
	v_and_b32_e32 v1, 0x7fffffff, v0
	v_mov_b32_e32 v4, 0x80
	s_mov_b32 s9, exec_lo
	v_cmpx_gt_u32_e32 0x43800000, v1
	s_cbranch_execz .LBB20_974
; %bb.969:
	v_cmp_lt_u32_e32 vcc_lo, 0x3bffffff, v1
	s_mov_b32 s10, 0
                                        ; implicit-def: $vgpr1
	s_and_saveexec_b32 s11, vcc_lo
	s_xor_b32 s11, exec_lo, s11
	s_cbranch_execz .LBB20_1118
; %bb.970:
	v_bfe_u32 v1, v0, 20, 1
	s_mov_b32 s10, exec_lo
	v_add3_u32 v1, v0, v1, 0x487ffff
	v_lshrrev_b32_e32 v1, 20, v1
	s_andn2_saveexec_b32 s11, s11
	s_cbranch_execnz .LBB20_1119
.LBB20_971:
	s_or_b32 exec_lo, exec_lo, s11
	v_mov_b32_e32 v4, 0
	s_and_saveexec_b32 s11, s10
.LBB20_972:
	v_lshrrev_b32_e32 v4, 24, v0
	v_and_or_b32 v4, 0x80, v4, v1
.LBB20_973:
	s_or_b32 exec_lo, exec_lo, s11
.LBB20_974:
	s_or_b32 exec_lo, exec_lo, s9
	global_store_byte v[2:3], v4, off
.LBB20_975:
	s_mov_b32 s9, 0
.LBB20_976:
	s_and_b32 vcc_lo, exec_lo, s9
	s_cbranch_vccz .LBB20_1016
; %bb.977:
	s_cmp_gt_i32 s7, 22
	s_mov_b32 s8, -1
	s_cbranch_scc0 .LBB20_1009
; %bb.978:
	s_cmp_lt_i32 s7, 24
	s_cbranch_scc1 .LBB20_998
; %bb.979:
	s_cmp_gt_i32 s7, 24
	s_cbranch_scc0 .LBB20_987
; %bb.980:
	v_and_b32_e32 v1, 0x7fffffff, v0
	v_mov_b32_e32 v4, 0x80
	s_mov_b32 s8, exec_lo
	v_cmpx_gt_u32_e32 0x47800000, v1
	s_cbranch_execz .LBB20_986
; %bb.981:
	v_cmp_lt_u32_e32 vcc_lo, 0x37ffffff, v1
	s_mov_b32 s9, 0
                                        ; implicit-def: $vgpr1
	s_and_saveexec_b32 s10, vcc_lo
	s_xor_b32 s10, exec_lo, s10
	s_cbranch_execz .LBB20_1123
; %bb.982:
	v_bfe_u32 v1, v0, 21, 1
	s_mov_b32 s9, exec_lo
	v_add3_u32 v1, v0, v1, 0x88fffff
	v_lshrrev_b32_e32 v1, 21, v1
	s_andn2_saveexec_b32 s10, s10
	s_cbranch_execnz .LBB20_1124
.LBB20_983:
	s_or_b32 exec_lo, exec_lo, s10
	v_mov_b32_e32 v4, 0
	s_and_saveexec_b32 s10, s9
.LBB20_984:
	v_lshrrev_b32_e32 v4, 24, v0
	v_and_or_b32 v4, 0x80, v4, v1
.LBB20_985:
	s_or_b32 exec_lo, exec_lo, s10
.LBB20_986:
	s_or_b32 exec_lo, exec_lo, s8
	s_mov_b32 s8, 0
	global_store_byte v[2:3], v4, off
.LBB20_987:
	s_and_b32 vcc_lo, exec_lo, s8
	s_cbranch_vccz .LBB20_997
; %bb.988:
	v_and_b32_e32 v4, 0x7fffffff, v0
	s_mov_b32 s8, exec_lo
                                        ; implicit-def: $vgpr1
	v_cmpx_gt_u32_e32 0x43f00000, v4
	s_xor_b32 s8, exec_lo, s8
	s_cbranch_execz .LBB20_994
; %bb.989:
	s_mov_b32 s9, exec_lo
                                        ; implicit-def: $vgpr1
	v_cmpx_lt_u32_e32 0x3c7fffff, v4
	s_xor_b32 s9, exec_lo, s9
; %bb.990:
	v_bfe_u32 v1, v0, 20, 1
	v_add3_u32 v1, v0, v1, 0x407ffff
	v_and_b32_e32 v4, 0xff00000, v1
	v_lshrrev_b32_e32 v1, 20, v1
	v_cmp_ne_u32_e32 vcc_lo, 0x7f00000, v4
	v_cndmask_b32_e32 v1, 0x7e, v1, vcc_lo
; %bb.991:
	s_andn2_saveexec_b32 s9, s9
; %bb.992:
	v_add_f32_e64 v1, 0x46800000, |v0|
; %bb.993:
	s_or_b32 exec_lo, exec_lo, s9
                                        ; implicit-def: $vgpr4
.LBB20_994:
	s_andn2_saveexec_b32 s8, s8
; %bb.995:
	v_mov_b32_e32 v1, 0x7f
	v_cmp_lt_u32_e32 vcc_lo, 0x7f800000, v4
	v_cndmask_b32_e32 v1, 0x7e, v1, vcc_lo
; %bb.996:
	s_or_b32 exec_lo, exec_lo, s8
	v_lshrrev_b32_e32 v4, 24, v0
	v_and_or_b32 v1, 0x80, v4, v1
	global_store_byte v[2:3], v1, off
.LBB20_997:
	s_mov_b32 s8, 0
.LBB20_998:
	s_andn2_b32 vcc_lo, exec_lo, s8
	s_cbranch_vccnz .LBB20_1008
; %bb.999:
	v_and_b32_e32 v4, 0x7fffffff, v0
	s_mov_b32 s8, exec_lo
                                        ; implicit-def: $vgpr1
	v_cmpx_gt_u32_e32 0x47800000, v4
	s_xor_b32 s8, exec_lo, s8
	s_cbranch_execz .LBB20_1005
; %bb.1000:
	s_mov_b32 s9, exec_lo
                                        ; implicit-def: $vgpr1
	v_cmpx_lt_u32_e32 0x387fffff, v4
	s_xor_b32 s9, exec_lo, s9
; %bb.1001:
	v_bfe_u32 v1, v0, 21, 1
	v_add3_u32 v1, v0, v1, 0x80fffff
	v_lshrrev_b32_e32 v1, 21, v1
; %bb.1002:
	s_andn2_saveexec_b32 s9, s9
; %bb.1003:
	v_add_f32_e64 v1, 0x43000000, |v0|
; %bb.1004:
	s_or_b32 exec_lo, exec_lo, s9
                                        ; implicit-def: $vgpr4
.LBB20_1005:
	s_andn2_saveexec_b32 s8, s8
; %bb.1006:
	v_mov_b32_e32 v1, 0x7f
	v_cmp_lt_u32_e32 vcc_lo, 0x7f800000, v4
	v_cndmask_b32_e32 v1, 0x7c, v1, vcc_lo
; %bb.1007:
	s_or_b32 exec_lo, exec_lo, s8
	v_lshrrev_b32_e32 v4, 24, v0
	v_and_or_b32 v1, 0x80, v4, v1
	global_store_byte v[2:3], v1, off
.LBB20_1008:
	s_mov_b32 s8, 0
.LBB20_1009:
	s_andn2_b32 vcc_lo, exec_lo, s8
	s_mov_b32 s8, 0
	s_cbranch_vccnz .LBB20_1016
; %bb.1010:
	s_cmp_gt_i32 s7, 14
	s_mov_b32 s8, -1
	s_cbranch_scc0 .LBB20_1014
; %bb.1011:
	s_cmp_eq_u32 s7, 15
	s_mov_b32 s4, -1
	s_cbranch_scc0 .LBB20_1013
; %bb.1012:
	v_bfe_u32 v1, v0, 16, 1
	v_cmp_o_f32_e32 vcc_lo, v0, v0
	v_mov_b32_e32 v4, 0x7fc0
	s_mov_b32 s4, 0
	v_add3_u32 v1, v0, v1, 0x7fff
	v_cndmask_b32_sdwa v1, v4, v1, vcc_lo dst_sel:DWORD dst_unused:UNUSED_PAD src0_sel:DWORD src1_sel:WORD_1
	global_store_short v[2:3], v1, off
.LBB20_1013:
	s_mov_b32 s8, 0
.LBB20_1014:
	s_and_b32 vcc_lo, exec_lo, s8
	s_mov_b32 s8, 0
	s_cbranch_vccz .LBB20_1016
; %bb.1015:
	s_cmp_lg_u32 s7, 11
	s_mov_b32 s8, -1
	s_cselect_b32 s4, -1, 0
.LBB20_1016:
	s_and_b32 vcc_lo, exec_lo, s4
	s_cbranch_vccnz .LBB20_1120
.LBB20_1017:
	s_mov_b32 s4, 0
	s_branch .LBB20_1058
.LBB20_1018:
	s_mov_b32 s9, 0
	s_cbranch_execz .LBB20_941
; %bb.1019:
	s_and_b32 s4, 0xffff, s5
	s_mov_b32 s7, -1
	s_cmp_lt_i32 s4, 5
	s_cbranch_scc1 .LBB20_1040
; %bb.1020:
	s_cmp_lt_i32 s4, 8
	s_cbranch_scc1 .LBB20_1030
; %bb.1021:
	;; [unrolled: 3-line block ×3, first 2 shown]
	s_cmp_gt_i32 s4, 9
	s_cbranch_scc0 .LBB20_1024
; %bb.1023:
	v_cvt_f64_f32_e32 v[3:4], v31
	v_mov_b32_e32 v5, 0
	s_mov_b32 s7, 0
	v_mov_b32_e32 v6, v5
	global_store_dwordx4 v[1:2], v[3:6], off
.LBB20_1024:
	s_andn2_b32 vcc_lo, exec_lo, s7
	s_cbranch_vccnz .LBB20_1026
; %bb.1025:
	v_mov_b32_e32 v32, 0
	global_store_dwordx2 v[1:2], v[31:32], off
.LBB20_1026:
	s_mov_b32 s7, 0
.LBB20_1027:
	s_andn2_b32 vcc_lo, exec_lo, s7
	s_cbranch_vccnz .LBB20_1029
; %bb.1028:
	v_cvt_f16_f32_e32 v3, v31
	v_and_b32_e32 v3, 0xffff, v3
	global_store_dword v[1:2], v3, off
.LBB20_1029:
	s_mov_b32 s7, 0
.LBB20_1030:
	s_andn2_b32 vcc_lo, exec_lo, s7
	s_cbranch_vccnz .LBB20_1039
; %bb.1031:
	s_cmp_lt_i32 s4, 6
	s_mov_b32 s7, -1
	s_cbranch_scc1 .LBB20_1037
; %bb.1032:
	s_cmp_gt_i32 s4, 6
	s_cbranch_scc0 .LBB20_1034
; %bb.1033:
	v_cvt_f64_f32_e32 v[3:4], v31
	s_mov_b32 s7, 0
	global_store_dwordx2 v[1:2], v[3:4], off
.LBB20_1034:
	s_andn2_b32 vcc_lo, exec_lo, s7
	s_cbranch_vccnz .LBB20_1036
; %bb.1035:
	global_store_dword v[1:2], v31, off
.LBB20_1036:
	s_mov_b32 s7, 0
.LBB20_1037:
	s_andn2_b32 vcc_lo, exec_lo, s7
	s_cbranch_vccnz .LBB20_1039
; %bb.1038:
	v_cvt_f16_f32_e32 v3, v31
	global_store_short v[1:2], v3, off
.LBB20_1039:
	s_mov_b32 s7, 0
.LBB20_1040:
	s_andn2_b32 vcc_lo, exec_lo, s7
	s_cbranch_vccnz .LBB20_1056
; %bb.1041:
	s_cmp_lt_i32 s4, 2
	s_mov_b32 s7, -1
	s_cbranch_scc1 .LBB20_1051
; %bb.1042:
	s_cmp_lt_i32 s4, 3
	s_cbranch_scc1 .LBB20_1048
; %bb.1043:
	s_cmp_gt_i32 s4, 3
	s_cbranch_scc0 .LBB20_1045
; %bb.1044:
	v_trunc_f32_e32 v3, v31
	s_mov_b32 s7, 0
	v_mul_f32_e64 v4, 0x2f800000, |v3|
	v_ashrrev_i32_e32 v6, 31, v3
	v_floor_f32_e32 v4, v4
	v_fma_f32 v5, 0xcf800000, v4, |v3|
	v_cvt_u32_f32_e32 v4, v4
	v_cvt_u32_f32_e32 v3, v5
	v_xor_b32_e32 v4, v4, v6
	v_xor_b32_e32 v3, v3, v6
	v_sub_co_u32 v3, vcc_lo, v3, v6
	v_sub_co_ci_u32_e64 v4, null, v4, v6, vcc_lo
	global_store_dwordx2 v[1:2], v[3:4], off
.LBB20_1045:
	s_andn2_b32 vcc_lo, exec_lo, s7
	s_cbranch_vccnz .LBB20_1047
; %bb.1046:
	v_cvt_i32_f32_e32 v3, v31
	global_store_dword v[1:2], v3, off
.LBB20_1047:
	s_mov_b32 s7, 0
.LBB20_1048:
	s_andn2_b32 vcc_lo, exec_lo, s7
	s_cbranch_vccnz .LBB20_1050
; %bb.1049:
	v_cvt_i32_f32_e32 v3, v31
	global_store_short v[1:2], v3, off
.LBB20_1050:
	s_mov_b32 s7, 0
.LBB20_1051:
	s_andn2_b32 vcc_lo, exec_lo, s7
	s_cbranch_vccnz .LBB20_1056
; %bb.1052:
	s_cmp_gt_i32 s4, 0
	s_mov_b32 s4, -1
	s_cbranch_scc0 .LBB20_1054
; %bb.1053:
	v_cvt_i32_f32_e32 v3, v31
	s_mov_b32 s4, 0
	global_store_byte v[1:2], v3, off
.LBB20_1054:
	s_andn2_b32 vcc_lo, exec_lo, s4
	s_cbranch_vccnz .LBB20_1056
; %bb.1055:
	v_trunc_f32_e32 v3, v31
	v_mul_f32_e64 v4, 0x2f800000, |v3|
	v_floor_f32_e32 v4, v4
	v_fma_f32 v4, 0xcf800000, v4, |v3|
	v_ashrrev_i32_e32 v3, 31, v3
	v_cvt_u32_f32_e32 v4, v4
	v_xor_b32_e32 v4, v4, v3
	v_sub_nc_u32_e32 v3, v4, v3
	global_store_byte v[1:2], v3, off
.LBB20_1056:
	s_branch .LBB20_942
.LBB20_1057:
	s_mov_b32 s4, 0
	s_mov_b32 s8, 0
                                        ; implicit-def: $sgpr5
                                        ; implicit-def: $vgpr2_vgpr3
.LBB20_1058:
	s_andn2_b32 s7, s20, exec_lo
	s_and_b32 s6, s6, exec_lo
	s_and_b32 s4, s4, exec_lo
	;; [unrolled: 1-line block ×3, first 2 shown]
	s_or_b32 s20, s7, s6
.LBB20_1059:
	s_or_b32 exec_lo, exec_lo, s21
	s_and_saveexec_b32 s6, s20
	s_cbranch_execz .LBB20_1062
; %bb.1060:
	; divergent unreachable
	s_or_b32 exec_lo, exec_lo, s6
	s_and_saveexec_b32 s6, s41
	s_xor_b32 s6, exec_lo, s6
	s_cbranch_execnz .LBB20_1063
.LBB20_1061:
	s_or_b32 exec_lo, exec_lo, s6
	s_and_saveexec_b32 s6, s4
	s_cbranch_execnz .LBB20_1064
	s_branch .LBB20_1101
.LBB20_1062:
	s_or_b32 exec_lo, exec_lo, s6
	s_and_saveexec_b32 s6, s41
	s_xor_b32 s6, exec_lo, s6
	s_cbranch_execz .LBB20_1061
.LBB20_1063:
	v_cmp_neq_f32_e32 vcc_lo, 0, v0
	v_cndmask_b32_e64 v1, 0, 1, vcc_lo
	global_store_byte v[2:3], v1, off
	s_or_b32 exec_lo, exec_lo, s6
	s_and_saveexec_b32 s6, s4
	s_cbranch_execz .LBB20_1101
.LBB20_1064:
	s_sext_i32_i16 s6, s5
	s_mov_b32 s4, -1
	s_cmp_lt_i32 s6, 5
	s_cbranch_scc1 .LBB20_1085
; %bb.1065:
	s_cmp_lt_i32 s6, 8
	s_cbranch_scc1 .LBB20_1075
; %bb.1066:
	;; [unrolled: 3-line block ×3, first 2 shown]
	s_cmp_gt_i32 s6, 9
	s_cbranch_scc0 .LBB20_1069
; %bb.1068:
	v_cvt_f64_f32_e32 v[4:5], v0
	v_mov_b32_e32 v6, 0
	s_mov_b32 s4, 0
	v_mov_b32_e32 v7, v6
	global_store_dwordx4 v[2:3], v[4:7], off
.LBB20_1069:
	s_andn2_b32 vcc_lo, exec_lo, s4
	s_cbranch_vccnz .LBB20_1071
; %bb.1070:
	v_mov_b32_e32 v1, 0
	global_store_dwordx2 v[2:3], v[0:1], off
.LBB20_1071:
	s_mov_b32 s4, 0
.LBB20_1072:
	s_andn2_b32 vcc_lo, exec_lo, s4
	s_cbranch_vccnz .LBB20_1074
; %bb.1073:
	v_cvt_f16_f32_e32 v1, v0
	v_and_b32_e32 v1, 0xffff, v1
	global_store_dword v[2:3], v1, off
.LBB20_1074:
	s_mov_b32 s4, 0
.LBB20_1075:
	s_andn2_b32 vcc_lo, exec_lo, s4
	s_cbranch_vccnz .LBB20_1084
; %bb.1076:
	s_sext_i32_i16 s6, s5
	s_mov_b32 s4, -1
	s_cmp_lt_i32 s6, 6
	s_cbranch_scc1 .LBB20_1082
; %bb.1077:
	s_cmp_gt_i32 s6, 6
	s_cbranch_scc0 .LBB20_1079
; %bb.1078:
	v_cvt_f64_f32_e32 v[4:5], v0
	s_mov_b32 s4, 0
	global_store_dwordx2 v[2:3], v[4:5], off
.LBB20_1079:
	s_andn2_b32 vcc_lo, exec_lo, s4
	s_cbranch_vccnz .LBB20_1081
; %bb.1080:
	global_store_dword v[2:3], v0, off
.LBB20_1081:
	s_mov_b32 s4, 0
.LBB20_1082:
	s_andn2_b32 vcc_lo, exec_lo, s4
	s_cbranch_vccnz .LBB20_1084
; %bb.1083:
	v_cvt_f16_f32_e32 v1, v0
	global_store_short v[2:3], v1, off
.LBB20_1084:
	s_mov_b32 s4, 0
.LBB20_1085:
	s_andn2_b32 vcc_lo, exec_lo, s4
	s_cbranch_vccnz .LBB20_1101
; %bb.1086:
	s_sext_i32_i16 s6, s5
	s_mov_b32 s4, -1
	s_cmp_lt_i32 s6, 2
	s_cbranch_scc1 .LBB20_1096
; %bb.1087:
	s_cmp_lt_i32 s6, 3
	s_cbranch_scc1 .LBB20_1093
; %bb.1088:
	s_cmp_gt_i32 s6, 3
	s_cbranch_scc0 .LBB20_1090
; %bb.1089:
	v_trunc_f32_e32 v1, v0
	s_mov_b32 s4, 0
	v_mul_f32_e64 v4, 0x2f800000, |v1|
	v_floor_f32_e32 v4, v4
	v_fma_f32 v5, 0xcf800000, v4, |v1|
	v_ashrrev_i32_e32 v1, 31, v1
	v_cvt_u32_f32_e32 v4, v4
	v_cvt_u32_f32_e32 v5, v5
	v_xor_b32_e32 v6, v4, v1
	v_xor_b32_e32 v5, v5, v1
	v_sub_co_u32 v4, vcc_lo, v5, v1
	v_sub_co_ci_u32_e64 v5, null, v6, v1, vcc_lo
	global_store_dwordx2 v[2:3], v[4:5], off
.LBB20_1090:
	s_andn2_b32 vcc_lo, exec_lo, s4
	s_cbranch_vccnz .LBB20_1092
; %bb.1091:
	v_cvt_i32_f32_e32 v1, v0
	global_store_dword v[2:3], v1, off
.LBB20_1092:
	s_mov_b32 s4, 0
.LBB20_1093:
	s_andn2_b32 vcc_lo, exec_lo, s4
	s_cbranch_vccnz .LBB20_1095
; %bb.1094:
	v_cvt_i32_f32_e32 v1, v0
	global_store_short v[2:3], v1, off
.LBB20_1095:
	s_mov_b32 s4, 0
.LBB20_1096:
	s_andn2_b32 vcc_lo, exec_lo, s4
	s_cbranch_vccnz .LBB20_1101
; %bb.1097:
	s_sext_i32_i16 s4, s5
	s_cmp_gt_i32 s4, 0
	s_mov_b32 s4, -1
	s_cbranch_scc0 .LBB20_1099
; %bb.1098:
	v_cvt_i32_f32_e32 v1, v0
	s_mov_b32 s4, 0
	global_store_byte v[2:3], v1, off
.LBB20_1099:
	s_andn2_b32 vcc_lo, exec_lo, s4
	s_cbranch_vccnz .LBB20_1101
; %bb.1100:
	v_trunc_f32_e32 v0, v0
	v_mul_f32_e64 v1, 0x2f800000, |v0|
	v_floor_f32_e32 v1, v1
	v_fma_f32 v1, 0xcf800000, v1, |v0|
	v_ashrrev_i32_e32 v0, 31, v0
	v_cvt_u32_f32_e32 v1, v1
	v_xor_b32_e32 v1, v1, v0
	v_sub_nc_u32_e32 v0, v1, v0
	global_store_byte v[2:3], v0, off
	s_endpgm
.LBB20_1101:
	s_endpgm
.LBB20_1102:
	s_mov_b32 s8, 0
	s_mov_b32 s4, -1
	s_branch .LBB20_1058
.LBB20_1103:
	s_andn2_saveexec_b32 s10, s10
	s_cbranch_execz .LBB20_655
.LBB20_1104:
	v_add_f32_e64 v3, 0x46000000, |v33|
	s_andn2_b32 s9, s9, exec_lo
	v_and_b32_e32 v3, 0xff, v3
	v_cmp_ne_u32_e32 vcc_lo, 0, v3
	s_and_b32 s11, vcc_lo, exec_lo
	s_or_b32 s9, s9, s11
	s_or_b32 exec_lo, exec_lo, s10
	v_mov_b32_e32 v4, 0
	s_and_saveexec_b32 s10, s9
	s_cbranch_execnz .LBB20_656
	s_branch .LBB20_657
.LBB20_1105:
	s_or_b32 s6, s20, exec_lo
	s_trap 2
	s_cbranch_execz .LBB20_703
	s_branch .LBB20_704
.LBB20_1106:
	s_andn2_saveexec_b32 s9, s9
	s_cbranch_execz .LBB20_668
.LBB20_1107:
	v_add_f32_e64 v3, 0x42800000, |v33|
	s_andn2_b32 s8, s8, exec_lo
	v_and_b32_e32 v3, 0xff, v3
	v_cmp_ne_u32_e32 vcc_lo, 0, v3
	s_and_b32 s10, vcc_lo, exec_lo
	s_or_b32 s8, s8, s10
	s_or_b32 exec_lo, exec_lo, s9
	v_mov_b32_e32 v4, 0
	s_and_saveexec_b32 s9, s8
	s_cbranch_execnz .LBB20_669
	s_branch .LBB20_670
.LBB20_1108:
	s_andn2_saveexec_b32 s11, s11
	s_cbranch_execz .LBB20_773
.LBB20_1109:
	v_add_f32_e64 v3, 0x46000000, |v32|
	s_andn2_b32 s10, s10, exec_lo
	v_and_b32_e32 v3, 0xff, v3
	v_cmp_ne_u32_e32 vcc_lo, 0, v3
	s_and_b32 s12, vcc_lo, exec_lo
	s_or_b32 s10, s10, s12
	s_or_b32 exec_lo, exec_lo, s11
	v_mov_b32_e32 v4, 0
	s_and_saveexec_b32 s11, s10
	s_cbranch_execnz .LBB20_774
	s_branch .LBB20_775
.LBB20_1110:
	s_or_b32 s6, s6, exec_lo
	s_trap 2
	s_cbranch_execz .LBB20_821
	s_branch .LBB20_822
.LBB20_1111:
	s_andn2_saveexec_b32 s10, s10
	s_cbranch_execz .LBB20_786
.LBB20_1112:
	v_add_f32_e64 v3, 0x42800000, |v32|
	s_andn2_b32 s9, s9, exec_lo
	v_and_b32_e32 v3, 0xff, v3
	v_cmp_ne_u32_e32 vcc_lo, 0, v3
	s_and_b32 s11, vcc_lo, exec_lo
	s_or_b32 s9, s9, s11
	s_or_b32 exec_lo, exec_lo, s10
	v_mov_b32_e32 v4, 0
	s_and_saveexec_b32 s10, s9
	s_cbranch_execnz .LBB20_787
	s_branch .LBB20_788
.LBB20_1113:
	s_andn2_saveexec_b32 s11, s11
	s_cbranch_execz .LBB20_891
.LBB20_1114:
	v_add_f32_e64 v3, 0x46000000, |v31|
	s_andn2_b32 s10, s10, exec_lo
	v_and_b32_e32 v3, 0xff, v3
	v_cmp_ne_u32_e32 vcc_lo, 0, v3
	s_and_b32 s12, vcc_lo, exec_lo
	s_or_b32 s10, s10, s12
	s_or_b32 exec_lo, exec_lo, s11
	v_mov_b32_e32 v4, 0
	s_and_saveexec_b32 s11, s10
	s_cbranch_execnz .LBB20_892
	s_branch .LBB20_893
.LBB20_1115:
	s_or_b32 s6, s6, exec_lo
	s_trap 2
	s_cbranch_execz .LBB20_939
	s_branch .LBB20_940
.LBB20_1116:
	s_andn2_saveexec_b32 s10, s10
	s_cbranch_execz .LBB20_904
.LBB20_1117:
	v_add_f32_e64 v3, 0x42800000, |v31|
	s_andn2_b32 s9, s9, exec_lo
	v_and_b32_e32 v3, 0xff, v3
	v_cmp_ne_u32_e32 vcc_lo, 0, v3
	s_and_b32 s11, vcc_lo, exec_lo
	s_or_b32 s9, s9, s11
	s_or_b32 exec_lo, exec_lo, s10
	v_mov_b32_e32 v4, 0
	s_and_saveexec_b32 s10, s9
	s_cbranch_execnz .LBB20_905
	s_branch .LBB20_906
.LBB20_1118:
	s_andn2_saveexec_b32 s11, s11
	s_cbranch_execz .LBB20_971
.LBB20_1119:
	v_add_f32_e64 v1, 0x46000000, |v0|
	s_andn2_b32 s10, s10, exec_lo
	v_and_b32_e32 v1, 0xff, v1
	v_cmp_ne_u32_e32 vcc_lo, 0, v1
	s_and_b32 s12, vcc_lo, exec_lo
	s_or_b32 s10, s10, s12
	s_or_b32 exec_lo, exec_lo, s11
	v_mov_b32_e32 v4, 0
	s_and_saveexec_b32 s11, s10
	s_cbranch_execnz .LBB20_972
	s_branch .LBB20_973
.LBB20_1120:
	s_mov_b32 s8, 0
	s_or_b32 s6, s6, exec_lo
	s_trap 2
	s_branch .LBB20_1017
.LBB20_1121:
	s_andn2_saveexec_b32 s9, s9
	s_cbranch_execz .LBB20_480
.LBB20_1122:
	v_add_f32_e64 v1, 0x46000000, |v0|
	s_andn2_b32 s8, s8, exec_lo
	v_and_b32_e32 v1, 0xff, v1
	v_cmp_ne_u32_e32 vcc_lo, 0, v1
	s_and_b32 s10, vcc_lo, exec_lo
	s_or_b32 s8, s8, s10
	s_or_b32 exec_lo, exec_lo, s9
	v_mov_b32_e32 v4, 0
	s_and_saveexec_b32 s9, s8
	s_cbranch_execnz .LBB20_481
	s_branch .LBB20_482
.LBB20_1123:
	s_andn2_saveexec_b32 s10, s10
	s_cbranch_execz .LBB20_983
.LBB20_1124:
	v_add_f32_e64 v1, 0x42800000, |v0|
	s_andn2_b32 s9, s9, exec_lo
	v_and_b32_e32 v1, 0xff, v1
	v_cmp_ne_u32_e32 vcc_lo, 0, v1
	s_and_b32 s11, vcc_lo, exec_lo
	s_or_b32 s9, s9, s11
	s_or_b32 exec_lo, exec_lo, s10
	v_mov_b32_e32 v4, 0
	s_and_saveexec_b32 s10, s9
	s_cbranch_execnz .LBB20_984
	s_branch .LBB20_985
.LBB20_1125:
	s_andn2_saveexec_b32 s10, s10
	s_cbranch_execz .LBB20_492
.LBB20_1126:
	v_add_f32_e64 v1, 0x42800000, |v0|
	s_andn2_b32 s9, s9, exec_lo
	v_and_b32_e32 v1, 0xff, v1
	v_cmp_ne_u32_e32 vcc_lo, 0, v1
	s_and_b32 s11, vcc_lo, exec_lo
	s_or_b32 s9, s9, s11
	s_or_b32 exec_lo, exec_lo, s10
	v_mov_b32_e32 v4, 0
	s_and_saveexec_b32 s10, s9
	s_cbranch_execnz .LBB20_493
	s_branch .LBB20_494
	.section	.rodata,"a",@progbits
	.p2align	6, 0x0
	.amdhsa_kernel _ZN2at6native32elementwise_kernel_manual_unrollILi128ELi4EZNS0_15gpu_kernel_implIZZZNS0_12_GLOBAL__N_121bessel_j1_kernel_cudaERNS_18TensorIteratorBaseEENKUlvE_clEvENKUlvE0_clEvEUlfE_EEvS5_RKT_EUlibE0_EEviT1_
		.amdhsa_group_segment_fixed_size 0
		.amdhsa_private_segment_fixed_size 0
		.amdhsa_kernarg_size 360
		.amdhsa_user_sgpr_count 6
		.amdhsa_user_sgpr_private_segment_buffer 1
		.amdhsa_user_sgpr_dispatch_ptr 0
		.amdhsa_user_sgpr_queue_ptr 0
		.amdhsa_user_sgpr_kernarg_segment_ptr 1
		.amdhsa_user_sgpr_dispatch_id 0
		.amdhsa_user_sgpr_flat_scratch_init 0
		.amdhsa_user_sgpr_private_segment_size 0
		.amdhsa_wavefront_size32 1
		.amdhsa_uses_dynamic_stack 0
		.amdhsa_system_sgpr_private_segment_wavefront_offset 0
		.amdhsa_system_sgpr_workgroup_id_x 1
		.amdhsa_system_sgpr_workgroup_id_y 0
		.amdhsa_system_sgpr_workgroup_id_z 0
		.amdhsa_system_sgpr_workgroup_info 0
		.amdhsa_system_vgpr_workitem_id 0
		.amdhsa_next_free_vgpr 45
		.amdhsa_next_free_sgpr 72
		.amdhsa_reserve_vcc 1
		.amdhsa_reserve_flat_scratch 0
		.amdhsa_float_round_mode_32 0
		.amdhsa_float_round_mode_16_64 0
		.amdhsa_float_denorm_mode_32 3
		.amdhsa_float_denorm_mode_16_64 3
		.amdhsa_dx10_clamp 1
		.amdhsa_ieee_mode 1
		.amdhsa_fp16_overflow 0
		.amdhsa_workgroup_processor_mode 1
		.amdhsa_memory_ordered 1
		.amdhsa_forward_progress 1
		.amdhsa_shared_vgpr_count 0
		.amdhsa_exception_fp_ieee_invalid_op 0
		.amdhsa_exception_fp_denorm_src 0
		.amdhsa_exception_fp_ieee_div_zero 0
		.amdhsa_exception_fp_ieee_overflow 0
		.amdhsa_exception_fp_ieee_underflow 0
		.amdhsa_exception_fp_ieee_inexact 0
		.amdhsa_exception_int_div_zero 0
	.end_amdhsa_kernel
	.section	.text._ZN2at6native32elementwise_kernel_manual_unrollILi128ELi4EZNS0_15gpu_kernel_implIZZZNS0_12_GLOBAL__N_121bessel_j1_kernel_cudaERNS_18TensorIteratorBaseEENKUlvE_clEvENKUlvE0_clEvEUlfE_EEvS5_RKT_EUlibE0_EEviT1_,"axG",@progbits,_ZN2at6native32elementwise_kernel_manual_unrollILi128ELi4EZNS0_15gpu_kernel_implIZZZNS0_12_GLOBAL__N_121bessel_j1_kernel_cudaERNS_18TensorIteratorBaseEENKUlvE_clEvENKUlvE0_clEvEUlfE_EEvS5_RKT_EUlibE0_EEviT1_,comdat
.Lfunc_end20:
	.size	_ZN2at6native32elementwise_kernel_manual_unrollILi128ELi4EZNS0_15gpu_kernel_implIZZZNS0_12_GLOBAL__N_121bessel_j1_kernel_cudaERNS_18TensorIteratorBaseEENKUlvE_clEvENKUlvE0_clEvEUlfE_EEvS5_RKT_EUlibE0_EEviT1_, .Lfunc_end20-_ZN2at6native32elementwise_kernel_manual_unrollILi128ELi4EZNS0_15gpu_kernel_implIZZZNS0_12_GLOBAL__N_121bessel_j1_kernel_cudaERNS_18TensorIteratorBaseEENKUlvE_clEvENKUlvE0_clEvEUlfE_EEvS5_RKT_EUlibE0_EEviT1_
                                        ; -- End function
	.set _ZN2at6native32elementwise_kernel_manual_unrollILi128ELi4EZNS0_15gpu_kernel_implIZZZNS0_12_GLOBAL__N_121bessel_j1_kernel_cudaERNS_18TensorIteratorBaseEENKUlvE_clEvENKUlvE0_clEvEUlfE_EEvS5_RKT_EUlibE0_EEviT1_.num_vgpr, max(45, .L_ZN2at6native6invokeIZZZNS0_12_GLOBAL__N_121bessel_j1_kernel_cudaERNS_18TensorIteratorBaseEENKUlvE_clEvENKUlvE0_clEvEUlfE_j15function_traitsIS7_EEENT1_11result_typeERKT_PrKPcPKT0_PKN3c1010ScalarTypeEi.num_vgpr)
	.set _ZN2at6native32elementwise_kernel_manual_unrollILi128ELi4EZNS0_15gpu_kernel_implIZZZNS0_12_GLOBAL__N_121bessel_j1_kernel_cudaERNS_18TensorIteratorBaseEENKUlvE_clEvENKUlvE0_clEvEUlfE_EEvS5_RKT_EUlibE0_EEviT1_.num_agpr, max(0, .L_ZN2at6native6invokeIZZZNS0_12_GLOBAL__N_121bessel_j1_kernel_cudaERNS_18TensorIteratorBaseEENKUlvE_clEvENKUlvE0_clEvEUlfE_j15function_traitsIS7_EEENT1_11result_typeERKT_PrKPcPKT0_PKN3c1010ScalarTypeEi.num_agpr)
	.set _ZN2at6native32elementwise_kernel_manual_unrollILi128ELi4EZNS0_15gpu_kernel_implIZZZNS0_12_GLOBAL__N_121bessel_j1_kernel_cudaERNS_18TensorIteratorBaseEENKUlvE_clEvENKUlvE0_clEvEUlfE_EEvS5_RKT_EUlibE0_EEviT1_.numbered_sgpr, max(72, .L_ZN2at6native6invokeIZZZNS0_12_GLOBAL__N_121bessel_j1_kernel_cudaERNS_18TensorIteratorBaseEENKUlvE_clEvENKUlvE0_clEvEUlfE_j15function_traitsIS7_EEENT1_11result_typeERKT_PrKPcPKT0_PKN3c1010ScalarTypeEi.numbered_sgpr)
	.set _ZN2at6native32elementwise_kernel_manual_unrollILi128ELi4EZNS0_15gpu_kernel_implIZZZNS0_12_GLOBAL__N_121bessel_j1_kernel_cudaERNS_18TensorIteratorBaseEENKUlvE_clEvENKUlvE0_clEvEUlfE_EEvS5_RKT_EUlibE0_EEviT1_.num_named_barrier, max(0, .L_ZN2at6native6invokeIZZZNS0_12_GLOBAL__N_121bessel_j1_kernel_cudaERNS_18TensorIteratorBaseEENKUlvE_clEvENKUlvE0_clEvEUlfE_j15function_traitsIS7_EEENT1_11result_typeERKT_PrKPcPKT0_PKN3c1010ScalarTypeEi.num_named_barrier)
	.set _ZN2at6native32elementwise_kernel_manual_unrollILi128ELi4EZNS0_15gpu_kernel_implIZZZNS0_12_GLOBAL__N_121bessel_j1_kernel_cudaERNS_18TensorIteratorBaseEENKUlvE_clEvENKUlvE0_clEvEUlfE_EEvS5_RKT_EUlibE0_EEviT1_.private_seg_size, 0+max(.L_ZN2at6native6invokeIZZZNS0_12_GLOBAL__N_121bessel_j1_kernel_cudaERNS_18TensorIteratorBaseEENKUlvE_clEvENKUlvE0_clEvEUlfE_j15function_traitsIS7_EEENT1_11result_typeERKT_PrKPcPKT0_PKN3c1010ScalarTypeEi.private_seg_size)
	.set _ZN2at6native32elementwise_kernel_manual_unrollILi128ELi4EZNS0_15gpu_kernel_implIZZZNS0_12_GLOBAL__N_121bessel_j1_kernel_cudaERNS_18TensorIteratorBaseEENKUlvE_clEvENKUlvE0_clEvEUlfE_EEvS5_RKT_EUlibE0_EEviT1_.uses_vcc, or(1, .L_ZN2at6native6invokeIZZZNS0_12_GLOBAL__N_121bessel_j1_kernel_cudaERNS_18TensorIteratorBaseEENKUlvE_clEvENKUlvE0_clEvEUlfE_j15function_traitsIS7_EEENT1_11result_typeERKT_PrKPcPKT0_PKN3c1010ScalarTypeEi.uses_vcc)
	.set _ZN2at6native32elementwise_kernel_manual_unrollILi128ELi4EZNS0_15gpu_kernel_implIZZZNS0_12_GLOBAL__N_121bessel_j1_kernel_cudaERNS_18TensorIteratorBaseEENKUlvE_clEvENKUlvE0_clEvEUlfE_EEvS5_RKT_EUlibE0_EEviT1_.uses_flat_scratch, or(0, .L_ZN2at6native6invokeIZZZNS0_12_GLOBAL__N_121bessel_j1_kernel_cudaERNS_18TensorIteratorBaseEENKUlvE_clEvENKUlvE0_clEvEUlfE_j15function_traitsIS7_EEENT1_11result_typeERKT_PrKPcPKT0_PKN3c1010ScalarTypeEi.uses_flat_scratch)
	.set _ZN2at6native32elementwise_kernel_manual_unrollILi128ELi4EZNS0_15gpu_kernel_implIZZZNS0_12_GLOBAL__N_121bessel_j1_kernel_cudaERNS_18TensorIteratorBaseEENKUlvE_clEvENKUlvE0_clEvEUlfE_EEvS5_RKT_EUlibE0_EEviT1_.has_dyn_sized_stack, or(0, .L_ZN2at6native6invokeIZZZNS0_12_GLOBAL__N_121bessel_j1_kernel_cudaERNS_18TensorIteratorBaseEENKUlvE_clEvENKUlvE0_clEvEUlfE_j15function_traitsIS7_EEENT1_11result_typeERKT_PrKPcPKT0_PKN3c1010ScalarTypeEi.has_dyn_sized_stack)
	.set _ZN2at6native32elementwise_kernel_manual_unrollILi128ELi4EZNS0_15gpu_kernel_implIZZZNS0_12_GLOBAL__N_121bessel_j1_kernel_cudaERNS_18TensorIteratorBaseEENKUlvE_clEvENKUlvE0_clEvEUlfE_EEvS5_RKT_EUlibE0_EEviT1_.has_recursion, or(0, .L_ZN2at6native6invokeIZZZNS0_12_GLOBAL__N_121bessel_j1_kernel_cudaERNS_18TensorIteratorBaseEENKUlvE_clEvENKUlvE0_clEvEUlfE_j15function_traitsIS7_EEENT1_11result_typeERKT_PrKPcPKT0_PKN3c1010ScalarTypeEi.has_recursion)
	.set _ZN2at6native32elementwise_kernel_manual_unrollILi128ELi4EZNS0_15gpu_kernel_implIZZZNS0_12_GLOBAL__N_121bessel_j1_kernel_cudaERNS_18TensorIteratorBaseEENKUlvE_clEvENKUlvE0_clEvEUlfE_EEvS5_RKT_EUlibE0_EEviT1_.has_indirect_call, or(0, .L_ZN2at6native6invokeIZZZNS0_12_GLOBAL__N_121bessel_j1_kernel_cudaERNS_18TensorIteratorBaseEENKUlvE_clEvENKUlvE0_clEvEUlfE_j15function_traitsIS7_EEENT1_11result_typeERKT_PrKPcPKT0_PKN3c1010ScalarTypeEi.has_indirect_call)
	.section	.AMDGPU.csdata,"",@progbits
; Kernel info:
; codeLenInByte = 21868
; TotalNumSgprs: 74
; NumVgprs: 45
; ScratchSize: 0
; MemoryBound: 0
; FloatMode: 240
; IeeeMode: 1
; LDSByteSize: 0 bytes/workgroup (compile time only)
; SGPRBlocks: 0
; VGPRBlocks: 5
; NumSGPRsForWavesPerEU: 74
; NumVGPRsForWavesPerEU: 45
; Occupancy: 16
; WaveLimiterHint : 1
; COMPUTE_PGM_RSRC2:SCRATCH_EN: 0
; COMPUTE_PGM_RSRC2:USER_SGPR: 6
; COMPUTE_PGM_RSRC2:TRAP_HANDLER: 0
; COMPUTE_PGM_RSRC2:TGID_X_EN: 1
; COMPUTE_PGM_RSRC2:TGID_Y_EN: 0
; COMPUTE_PGM_RSRC2:TGID_Z_EN: 0
; COMPUTE_PGM_RSRC2:TIDIG_COMP_CNT: 0
	.text
	.p2alignl 6, 3214868480
	.fill 48, 4, 3214868480
	.section	.AMDGPU.gpr_maximums,"",@progbits
	.set amdgpu.max_num_vgpr, 84
	.set amdgpu.max_num_agpr, 0
	.set amdgpu.max_num_sgpr, 32
	.text
	.type	__hip_cuid_8ac34c66dcb724fd,@object ; @__hip_cuid_8ac34c66dcb724fd
	.section	.bss,"aw",@nobits
	.globl	__hip_cuid_8ac34c66dcb724fd
__hip_cuid_8ac34c66dcb724fd:
	.byte	0                               ; 0x0
	.size	__hip_cuid_8ac34c66dcb724fd, 1

	.ident	"AMD clang version 22.0.0git (https://github.com/RadeonOpenCompute/llvm-project roc-7.2.4 26084 f58b06dce1f9c15707c5f808fd002e18c2accf7e)"
	.section	".note.GNU-stack","",@progbits
	.addrsig
	.addrsig_sym __hip_cuid_8ac34c66dcb724fd
	.amdgpu_metadata
---
amdhsa.kernels:
  - .args:
      - .offset:         0
        .size:           4
        .value_kind:     by_value
      - .offset:         4
        .size:           1
        .value_kind:     by_value
      - .offset:         8
        .size:           16
        .value_kind:     by_value
    .group_segment_fixed_size: 0
    .kernarg_segment_align: 8
    .kernarg_segment_size: 24
    .language:       OpenCL C
    .language_version:
      - 2
      - 0
    .max_flat_workgroup_size: 256
    .name:           _ZN2at6native29vectorized_elementwise_kernelILi16EZZZNS0_12_GLOBAL__N_121bessel_j1_kernel_cudaERNS_18TensorIteratorBaseEENKUlvE_clEvENKUlvE_clEvEUldE_St5arrayIPcLm2EEEEviT0_T1_
    .private_segment_fixed_size: 0
    .sgpr_count:     44
    .sgpr_spill_count: 0
    .symbol:         _ZN2at6native29vectorized_elementwise_kernelILi16EZZZNS0_12_GLOBAL__N_121bessel_j1_kernel_cudaERNS_18TensorIteratorBaseEENKUlvE_clEvENKUlvE_clEvEUldE_St5arrayIPcLm2EEEEviT0_T1_.kd
    .uniform_work_group_size: 1
    .uses_dynamic_stack: false
    .vgpr_count:     84
    .vgpr_spill_count: 0
    .wavefront_size: 32
    .workgroup_processor_mode: 1
  - .args:
      - .offset:         0
        .size:           4
        .value_kind:     by_value
      - .offset:         4
        .size:           1
        .value_kind:     by_value
      - .offset:         8
        .size:           16
        .value_kind:     by_value
    .group_segment_fixed_size: 0
    .kernarg_segment_align: 8
    .kernarg_segment_size: 24
    .language:       OpenCL C
    .language_version:
      - 2
      - 0
    .max_flat_workgroup_size: 256
    .name:           _ZN2at6native29vectorized_elementwise_kernelILi8EZZZNS0_12_GLOBAL__N_121bessel_j1_kernel_cudaERNS_18TensorIteratorBaseEENKUlvE_clEvENKUlvE_clEvEUldE_St5arrayIPcLm2EEEEviT0_T1_
    .private_segment_fixed_size: 0
    .sgpr_count:     44
    .sgpr_spill_count: 0
    .symbol:         _ZN2at6native29vectorized_elementwise_kernelILi8EZZZNS0_12_GLOBAL__N_121bessel_j1_kernel_cudaERNS_18TensorIteratorBaseEENKUlvE_clEvENKUlvE_clEvEUldE_St5arrayIPcLm2EEEEviT0_T1_.kd
    .uniform_work_group_size: 1
    .uses_dynamic_stack: false
    .vgpr_count:     84
    .vgpr_spill_count: 0
    .wavefront_size: 32
    .workgroup_processor_mode: 1
  - .args:
      - .offset:         0
        .size:           4
        .value_kind:     by_value
      - .offset:         4
        .size:           1
        .value_kind:     by_value
      - .offset:         8
        .size:           16
        .value_kind:     by_value
    .group_segment_fixed_size: 0
    .kernarg_segment_align: 8
    .kernarg_segment_size: 24
    .language:       OpenCL C
    .language_version:
      - 2
      - 0
    .max_flat_workgroup_size: 256
    .name:           _ZN2at6native29vectorized_elementwise_kernelILi4EZZZNS0_12_GLOBAL__N_121bessel_j1_kernel_cudaERNS_18TensorIteratorBaseEENKUlvE_clEvENKUlvE_clEvEUldE_St5arrayIPcLm2EEEEviT0_T1_
    .private_segment_fixed_size: 0
    .sgpr_count:     44
    .sgpr_spill_count: 0
    .symbol:         _ZN2at6native29vectorized_elementwise_kernelILi4EZZZNS0_12_GLOBAL__N_121bessel_j1_kernel_cudaERNS_18TensorIteratorBaseEENKUlvE_clEvENKUlvE_clEvEUldE_St5arrayIPcLm2EEEEviT0_T1_.kd
    .uniform_work_group_size: 1
    .uses_dynamic_stack: false
    .vgpr_count:     84
    .vgpr_spill_count: 0
    .wavefront_size: 32
    .workgroup_processor_mode: 1
  - .args:
      - .offset:         0
        .size:           4
        .value_kind:     by_value
      - .offset:         4
        .size:           1
        .value_kind:     by_value
      - .offset:         8
        .size:           16
        .value_kind:     by_value
    .group_segment_fixed_size: 0
    .kernarg_segment_align: 8
    .kernarg_segment_size: 24
    .language:       OpenCL C
    .language_version:
      - 2
      - 0
    .max_flat_workgroup_size: 256
    .name:           _ZN2at6native29vectorized_elementwise_kernelILi2EZZZNS0_12_GLOBAL__N_121bessel_j1_kernel_cudaERNS_18TensorIteratorBaseEENKUlvE_clEvENKUlvE_clEvEUldE_St5arrayIPcLm2EEEEviT0_T1_
    .private_segment_fixed_size: 0
    .sgpr_count:     44
    .sgpr_spill_count: 0
    .symbol:         _ZN2at6native29vectorized_elementwise_kernelILi2EZZZNS0_12_GLOBAL__N_121bessel_j1_kernel_cudaERNS_18TensorIteratorBaseEENKUlvE_clEvENKUlvE_clEvEUldE_St5arrayIPcLm2EEEEviT0_T1_.kd
    .uniform_work_group_size: 1
    .uses_dynamic_stack: false
    .vgpr_count:     84
    .vgpr_spill_count: 0
    .wavefront_size: 32
    .workgroup_processor_mode: 1
  - .args:
      - .offset:         0
        .size:           4
        .value_kind:     by_value
      - .offset:         4
        .size:           1
        .value_kind:     by_value
      - .offset:         8
        .size:           16
        .value_kind:     by_value
      - .offset:         24
        .size:           1
        .value_kind:     by_value
      - .offset:         25
        .size:           1
        .value_kind:     by_value
      - .offset:         26
        .size:           1
        .value_kind:     by_value
      - .offset:         27
        .size:           1
        .value_kind:     by_value
    .group_segment_fixed_size: 0
    .kernarg_segment_align: 8
    .kernarg_segment_size: 28
    .language:       OpenCL C
    .language_version:
      - 2
      - 0
    .max_flat_workgroup_size: 256
    .name:           _ZN2at6native27unrolled_elementwise_kernelIZZZNS0_12_GLOBAL__N_121bessel_j1_kernel_cudaERNS_18TensorIteratorBaseEENKUlvE_clEvENKUlvE_clEvEUldE_St5arrayIPcLm2EELi4E23TrivialOffsetCalculatorILi1EjESC_NS0_6memory15LoadWithoutCastENSD_16StoreWithoutCastEEEviT_T0_T2_T3_T4_T5_
    .private_segment_fixed_size: 0
    .sgpr_count:     37
    .sgpr_spill_count: 0
    .symbol:         _ZN2at6native27unrolled_elementwise_kernelIZZZNS0_12_GLOBAL__N_121bessel_j1_kernel_cudaERNS_18TensorIteratorBaseEENKUlvE_clEvENKUlvE_clEvEUldE_St5arrayIPcLm2EELi4E23TrivialOffsetCalculatorILi1EjESC_NS0_6memory15LoadWithoutCastENSD_16StoreWithoutCastEEEviT_T0_T2_T3_T4_T5_.kd
    .uniform_work_group_size: 1
    .uses_dynamic_stack: false
    .vgpr_count:     84
    .vgpr_spill_count: 0
    .wavefront_size: 32
    .workgroup_processor_mode: 1
  - .args:
      - .offset:         0
        .size:           4
        .value_kind:     by_value
      - .offset:         8
        .size:           352
        .value_kind:     by_value
    .group_segment_fixed_size: 0
    .kernarg_segment_align: 8
    .kernarg_segment_size: 360
    .language:       OpenCL C
    .language_version:
      - 2
      - 0
    .max_flat_workgroup_size: 128
    .name:           _ZN2at6native32elementwise_kernel_manual_unrollILi128ELi4EZNS0_22gpu_kernel_impl_nocastIZZZNS0_12_GLOBAL__N_121bessel_j1_kernel_cudaERNS_18TensorIteratorBaseEENKUlvE_clEvENKUlvE_clEvEUldE_EEvS5_RKT_EUlibE_EEviT1_
    .private_segment_fixed_size: 0
    .sgpr_count:     66
    .sgpr_spill_count: 0
    .symbol:         _ZN2at6native32elementwise_kernel_manual_unrollILi128ELi4EZNS0_22gpu_kernel_impl_nocastIZZZNS0_12_GLOBAL__N_121bessel_j1_kernel_cudaERNS_18TensorIteratorBaseEENKUlvE_clEvENKUlvE_clEvEUldE_EEvS5_RKT_EUlibE_EEviT1_.kd
    .uniform_work_group_size: 1
    .uses_dynamic_stack: false
    .vgpr_count:     84
    .vgpr_spill_count: 0
    .wavefront_size: 32
    .workgroup_processor_mode: 1
  - .args:
      - .offset:         0
        .size:           4
        .value_kind:     by_value
      - .offset:         8
        .size:           32
        .value_kind:     by_value
    .group_segment_fixed_size: 0
    .kernarg_segment_align: 8
    .kernarg_segment_size: 40
    .language:       OpenCL C
    .language_version:
      - 2
      - 0
    .max_flat_workgroup_size: 128
    .name:           _ZN2at6native32elementwise_kernel_manual_unrollILi128ELi4EZNS0_15gpu_kernel_implIZZZNS0_12_GLOBAL__N_121bessel_j1_kernel_cudaERNS_18TensorIteratorBaseEENKUlvE_clEvENKUlvE_clEvEUldE_EEvS5_RKT_EUlibE_EEviT1_
    .private_segment_fixed_size: 0
    .sgpr_count:     50
    .sgpr_spill_count: 0
    .symbol:         _ZN2at6native32elementwise_kernel_manual_unrollILi128ELi4EZNS0_15gpu_kernel_implIZZZNS0_12_GLOBAL__N_121bessel_j1_kernel_cudaERNS_18TensorIteratorBaseEENKUlvE_clEvENKUlvE_clEvEUldE_EEvS5_RKT_EUlibE_EEviT1_.kd
    .uniform_work_group_size: 1
    .uses_dynamic_stack: false
    .vgpr_count:     84
    .vgpr_spill_count: 0
    .wavefront_size: 32
    .workgroup_processor_mode: 1
  - .args:
      - .offset:         0
        .size:           4
        .value_kind:     by_value
      - .offset:         8
        .size:           352
        .value_kind:     by_value
    .group_segment_fixed_size: 0
    .kernarg_segment_align: 8
    .kernarg_segment_size: 360
    .language:       OpenCL C
    .language_version:
      - 2
      - 0
    .max_flat_workgroup_size: 128
    .name:           _ZN2at6native32elementwise_kernel_manual_unrollILi128ELi4EZNS0_15gpu_kernel_implIZZZNS0_12_GLOBAL__N_121bessel_j1_kernel_cudaERNS_18TensorIteratorBaseEENKUlvE_clEvENKUlvE_clEvEUldE_EEvS5_RKT_EUlibE0_EEviT1_
    .private_segment_fixed_size: 0
    .sgpr_count:     78
    .sgpr_spill_count: 0
    .symbol:         _ZN2at6native32elementwise_kernel_manual_unrollILi128ELi4EZNS0_15gpu_kernel_implIZZZNS0_12_GLOBAL__N_121bessel_j1_kernel_cudaERNS_18TensorIteratorBaseEENKUlvE_clEvENKUlvE_clEvEUldE_EEvS5_RKT_EUlibE0_EEviT1_.kd
    .uniform_work_group_size: 1
    .uses_dynamic_stack: false
    .vgpr_count:     84
    .vgpr_spill_count: 0
    .wavefront_size: 32
    .workgroup_processor_mode: 1
  - .args:
      - .offset:         0
        .size:           4
        .value_kind:     by_value
      - .offset:         4
        .size:           1
        .value_kind:     by_value
      - .offset:         8
        .size:           16
        .value_kind:     by_value
    .group_segment_fixed_size: 0
    .kernarg_segment_align: 8
    .kernarg_segment_size: 24
    .language:       OpenCL C
    .language_version:
      - 2
      - 0
    .max_flat_workgroup_size: 256
    .name:           _ZN2at6native29vectorized_elementwise_kernelILi16EZZZNS0_12_GLOBAL__N_121bessel_j1_kernel_cudaERNS_18TensorIteratorBaseEENKUlvE_clEvENKUlvE0_clEvEUlfE_St5arrayIPcLm2EEEEviT0_T1_
    .private_segment_fixed_size: 0
    .sgpr_count:     35
    .sgpr_spill_count: 0
    .symbol:         _ZN2at6native29vectorized_elementwise_kernelILi16EZZZNS0_12_GLOBAL__N_121bessel_j1_kernel_cudaERNS_18TensorIteratorBaseEENKUlvE_clEvENKUlvE0_clEvEUlfE_St5arrayIPcLm2EEEEviT0_T1_.kd
    .uniform_work_group_size: 1
    .uses_dynamic_stack: false
    .vgpr_count:     42
    .vgpr_spill_count: 0
    .wavefront_size: 32
    .workgroup_processor_mode: 1
  - .args:
      - .offset:         0
        .size:           4
        .value_kind:     by_value
      - .offset:         4
        .size:           1
        .value_kind:     by_value
      - .offset:         8
        .size:           16
        .value_kind:     by_value
    .group_segment_fixed_size: 0
    .kernarg_segment_align: 8
    .kernarg_segment_size: 24
    .language:       OpenCL C
    .language_version:
      - 2
      - 0
    .max_flat_workgroup_size: 256
    .name:           _ZN2at6native29vectorized_elementwise_kernelILi8EZZZNS0_12_GLOBAL__N_121bessel_j1_kernel_cudaERNS_18TensorIteratorBaseEENKUlvE_clEvENKUlvE0_clEvEUlfE_St5arrayIPcLm2EEEEviT0_T1_
    .private_segment_fixed_size: 0
    .sgpr_count:     35
    .sgpr_spill_count: 0
    .symbol:         _ZN2at6native29vectorized_elementwise_kernelILi8EZZZNS0_12_GLOBAL__N_121bessel_j1_kernel_cudaERNS_18TensorIteratorBaseEENKUlvE_clEvENKUlvE0_clEvEUlfE_St5arrayIPcLm2EEEEviT0_T1_.kd
    .uniform_work_group_size: 1
    .uses_dynamic_stack: false
    .vgpr_count:     42
    .vgpr_spill_count: 0
    .wavefront_size: 32
    .workgroup_processor_mode: 1
  - .args:
      - .offset:         0
        .size:           4
        .value_kind:     by_value
      - .offset:         4
        .size:           1
        .value_kind:     by_value
      - .offset:         8
        .size:           16
        .value_kind:     by_value
    .group_segment_fixed_size: 0
    .kernarg_segment_align: 8
    .kernarg_segment_size: 24
    .language:       OpenCL C
    .language_version:
      - 2
      - 0
    .max_flat_workgroup_size: 256
    .name:           _ZN2at6native29vectorized_elementwise_kernelILi4EZZZNS0_12_GLOBAL__N_121bessel_j1_kernel_cudaERNS_18TensorIteratorBaseEENKUlvE_clEvENKUlvE0_clEvEUlfE_St5arrayIPcLm2EEEEviT0_T1_
    .private_segment_fixed_size: 0
    .sgpr_count:     35
    .sgpr_spill_count: 0
    .symbol:         _ZN2at6native29vectorized_elementwise_kernelILi4EZZZNS0_12_GLOBAL__N_121bessel_j1_kernel_cudaERNS_18TensorIteratorBaseEENKUlvE_clEvENKUlvE0_clEvEUlfE_St5arrayIPcLm2EEEEviT0_T1_.kd
    .uniform_work_group_size: 1
    .uses_dynamic_stack: false
    .vgpr_count:     42
    .vgpr_spill_count: 0
    .wavefront_size: 32
    .workgroup_processor_mode: 1
  - .args:
      - .offset:         0
        .size:           4
        .value_kind:     by_value
      - .offset:         4
        .size:           1
        .value_kind:     by_value
      - .offset:         8
        .size:           16
        .value_kind:     by_value
    .group_segment_fixed_size: 0
    .kernarg_segment_align: 8
    .kernarg_segment_size: 24
    .language:       OpenCL C
    .language_version:
      - 2
      - 0
    .max_flat_workgroup_size: 256
    .name:           _ZN2at6native29vectorized_elementwise_kernelILi2EZZZNS0_12_GLOBAL__N_121bessel_j1_kernel_cudaERNS_18TensorIteratorBaseEENKUlvE_clEvENKUlvE0_clEvEUlfE_St5arrayIPcLm2EEEEviT0_T1_
    .private_segment_fixed_size: 0
    .sgpr_count:     35
    .sgpr_spill_count: 0
    .symbol:         _ZN2at6native29vectorized_elementwise_kernelILi2EZZZNS0_12_GLOBAL__N_121bessel_j1_kernel_cudaERNS_18TensorIteratorBaseEENKUlvE_clEvENKUlvE0_clEvEUlfE_St5arrayIPcLm2EEEEviT0_T1_.kd
    .uniform_work_group_size: 1
    .uses_dynamic_stack: false
    .vgpr_count:     42
    .vgpr_spill_count: 0
    .wavefront_size: 32
    .workgroup_processor_mode: 1
  - .args:
      - .offset:         0
        .size:           4
        .value_kind:     by_value
      - .offset:         4
        .size:           1
        .value_kind:     by_value
      - .offset:         8
        .size:           16
        .value_kind:     by_value
      - .offset:         24
        .size:           1
        .value_kind:     by_value
      - .offset:         25
        .size:           1
        .value_kind:     by_value
      - .offset:         26
        .size:           1
        .value_kind:     by_value
      - .offset:         27
        .size:           1
        .value_kind:     by_value
    .group_segment_fixed_size: 0
    .kernarg_segment_align: 8
    .kernarg_segment_size: 28
    .language:       OpenCL C
    .language_version:
      - 2
      - 0
    .max_flat_workgroup_size: 256
    .name:           _ZN2at6native27unrolled_elementwise_kernelIZZZNS0_12_GLOBAL__N_121bessel_j1_kernel_cudaERNS_18TensorIteratorBaseEENKUlvE_clEvENKUlvE0_clEvEUlfE_St5arrayIPcLm2EELi4E23TrivialOffsetCalculatorILi1EjESC_NS0_6memory15LoadWithoutCastENSD_16StoreWithoutCastEEEviT_T0_T2_T3_T4_T5_
    .private_segment_fixed_size: 0
    .sgpr_count:     35
    .sgpr_spill_count: 0
    .symbol:         _ZN2at6native27unrolled_elementwise_kernelIZZZNS0_12_GLOBAL__N_121bessel_j1_kernel_cudaERNS_18TensorIteratorBaseEENKUlvE_clEvENKUlvE0_clEvEUlfE_St5arrayIPcLm2EELi4E23TrivialOffsetCalculatorILi1EjESC_NS0_6memory15LoadWithoutCastENSD_16StoreWithoutCastEEEviT_T0_T2_T3_T4_T5_.kd
    .uniform_work_group_size: 1
    .uses_dynamic_stack: false
    .vgpr_count:     42
    .vgpr_spill_count: 0
    .wavefront_size: 32
    .workgroup_processor_mode: 1
  - .args:
      - .offset:         0
        .size:           4
        .value_kind:     by_value
      - .offset:         8
        .size:           352
        .value_kind:     by_value
    .group_segment_fixed_size: 0
    .kernarg_segment_align: 8
    .kernarg_segment_size: 360
    .language:       OpenCL C
    .language_version:
      - 2
      - 0
    .max_flat_workgroup_size: 128
    .name:           _ZN2at6native32elementwise_kernel_manual_unrollILi128ELi4EZNS0_22gpu_kernel_impl_nocastIZZZNS0_12_GLOBAL__N_121bessel_j1_kernel_cudaERNS_18TensorIteratorBaseEENKUlvE_clEvENKUlvE0_clEvEUlfE_EEvS5_RKT_EUlibE_EEviT1_
    .private_segment_fixed_size: 0
    .sgpr_count:     62
    .sgpr_spill_count: 0
    .symbol:         _ZN2at6native32elementwise_kernel_manual_unrollILi128ELi4EZNS0_22gpu_kernel_impl_nocastIZZZNS0_12_GLOBAL__N_121bessel_j1_kernel_cudaERNS_18TensorIteratorBaseEENKUlvE_clEvENKUlvE0_clEvEUlfE_EEvS5_RKT_EUlibE_EEviT1_.kd
    .uniform_work_group_size: 1
    .uses_dynamic_stack: false
    .vgpr_count:     40
    .vgpr_spill_count: 0
    .wavefront_size: 32
    .workgroup_processor_mode: 1
  - .args:
      - .offset:         0
        .size:           4
        .value_kind:     by_value
      - .offset:         8
        .size:           32
        .value_kind:     by_value
    .group_segment_fixed_size: 0
    .kernarg_segment_align: 8
    .kernarg_segment_size: 40
    .language:       OpenCL C
    .language_version:
      - 2
      - 0
    .max_flat_workgroup_size: 128
    .name:           _ZN2at6native32elementwise_kernel_manual_unrollILi128ELi4EZNS0_15gpu_kernel_implIZZZNS0_12_GLOBAL__N_121bessel_j1_kernel_cudaERNS_18TensorIteratorBaseEENKUlvE_clEvENKUlvE0_clEvEUlfE_EEvS5_RKT_EUlibE_EEviT1_
    .private_segment_fixed_size: 0
    .sgpr_count:     37
    .sgpr_spill_count: 0
    .symbol:         _ZN2at6native32elementwise_kernel_manual_unrollILi128ELi4EZNS0_15gpu_kernel_implIZZZNS0_12_GLOBAL__N_121bessel_j1_kernel_cudaERNS_18TensorIteratorBaseEENKUlvE_clEvENKUlvE0_clEvEUlfE_EEvS5_RKT_EUlibE_EEviT1_.kd
    .uniform_work_group_size: 1
    .uses_dynamic_stack: false
    .vgpr_count:     38
    .vgpr_spill_count: 0
    .wavefront_size: 32
    .workgroup_processor_mode: 1
  - .args:
      - .offset:         0
        .size:           4
        .value_kind:     by_value
      - .offset:         8
        .size:           352
        .value_kind:     by_value
    .group_segment_fixed_size: 0
    .kernarg_segment_align: 8
    .kernarg_segment_size: 360
    .language:       OpenCL C
    .language_version:
      - 2
      - 0
    .max_flat_workgroup_size: 128
    .name:           _ZN2at6native32elementwise_kernel_manual_unrollILi128ELi4EZNS0_15gpu_kernel_implIZZZNS0_12_GLOBAL__N_121bessel_j1_kernel_cudaERNS_18TensorIteratorBaseEENKUlvE_clEvENKUlvE0_clEvEUlfE_EEvS5_RKT_EUlibE0_EEviT1_
    .private_segment_fixed_size: 0
    .sgpr_count:     74
    .sgpr_spill_count: 0
    .symbol:         _ZN2at6native32elementwise_kernel_manual_unrollILi128ELi4EZNS0_15gpu_kernel_implIZZZNS0_12_GLOBAL__N_121bessel_j1_kernel_cudaERNS_18TensorIteratorBaseEENKUlvE_clEvENKUlvE0_clEvEUlfE_EEvS5_RKT_EUlibE0_EEviT1_.kd
    .uniform_work_group_size: 1
    .uses_dynamic_stack: false
    .vgpr_count:     45
    .vgpr_spill_count: 0
    .wavefront_size: 32
    .workgroup_processor_mode: 1
amdhsa.target:   amdgcn-amd-amdhsa--gfx1030
amdhsa.version:
  - 1
  - 2
...

	.end_amdgpu_metadata
